;; amdgpu-corpus repo=ROCm/rocFFT kind=compiled arch=gfx906 opt=O3
	.text
	.amdgcn_target "amdgcn-amd-amdhsa--gfx906"
	.amdhsa_code_object_version 6
	.protected	fft_rtc_back_len2560_factors_4_4_4_10_4_wgs_128_tpt_128_halfLds_dp_ip_CI_unitstride_sbrr_R2C_dirReg ; -- Begin function fft_rtc_back_len2560_factors_4_4_4_10_4_wgs_128_tpt_128_halfLds_dp_ip_CI_unitstride_sbrr_R2C_dirReg
	.globl	fft_rtc_back_len2560_factors_4_4_4_10_4_wgs_128_tpt_128_halfLds_dp_ip_CI_unitstride_sbrr_R2C_dirReg
	.p2align	8
	.type	fft_rtc_back_len2560_factors_4_4_4_10_4_wgs_128_tpt_128_halfLds_dp_ip_CI_unitstride_sbrr_R2C_dirReg,@function
fft_rtc_back_len2560_factors_4_4_4_10_4_wgs_128_tpt_128_halfLds_dp_ip_CI_unitstride_sbrr_R2C_dirReg: ; @fft_rtc_back_len2560_factors_4_4_4_10_4_wgs_128_tpt_128_halfLds_dp_ip_CI_unitstride_sbrr_R2C_dirReg
; %bb.0:
	s_load_dwordx4 s[8:11], s[4:5], 0x0
	s_load_dwordx2 s[2:3], s[4:5], 0x50
	s_load_dwordx2 s[12:13], s[4:5], 0x18
	v_mov_b32_e32 v3, 0
	v_mov_b32_e32 v1, 0
	s_waitcnt lgkmcnt(0)
	v_cmp_lt_u64_e64 s[0:1], s[10:11], 2
	v_mov_b32_e32 v5, s6
	v_mov_b32_e32 v6, v3
	s_and_b64 vcc, exec, s[0:1]
	v_mov_b32_e32 v2, 0
	s_cbranch_vccnz .LBB0_8
; %bb.1:
	s_load_dwordx2 s[0:1], s[4:5], 0x10
	s_add_u32 s6, s12, 8
	s_addc_u32 s7, s13, 0
	v_mov_b32_e32 v1, 0
	v_mov_b32_e32 v2, 0
	s_waitcnt lgkmcnt(0)
	s_add_u32 s14, s0, 8
	s_addc_u32 s15, s1, 0
	s_mov_b64 s[16:17], 1
.LBB0_2:                                ; =>This Inner Loop Header: Depth=1
	s_load_dwordx2 s[18:19], s[14:15], 0x0
                                        ; implicit-def: $vgpr7_vgpr8
	s_waitcnt lgkmcnt(0)
	v_or_b32_e32 v4, s19, v6
	v_cmp_ne_u64_e32 vcc, 0, v[3:4]
	s_and_saveexec_b64 s[0:1], vcc
	s_xor_b64 s[20:21], exec, s[0:1]
	s_cbranch_execz .LBB0_4
; %bb.3:                                ;   in Loop: Header=BB0_2 Depth=1
	v_cvt_f32_u32_e32 v4, s18
	v_cvt_f32_u32_e32 v7, s19
	s_sub_u32 s0, 0, s18
	s_subb_u32 s1, 0, s19
	v_mac_f32_e32 v4, 0x4f800000, v7
	v_rcp_f32_e32 v4, v4
	v_mul_f32_e32 v4, 0x5f7ffffc, v4
	v_mul_f32_e32 v7, 0x2f800000, v4
	v_trunc_f32_e32 v7, v7
	v_mac_f32_e32 v4, 0xcf800000, v7
	v_cvt_u32_f32_e32 v7, v7
	v_cvt_u32_f32_e32 v4, v4
	v_mul_lo_u32 v8, s0, v7
	v_mul_hi_u32 v9, s0, v4
	v_mul_lo_u32 v11, s1, v4
	v_mul_lo_u32 v10, s0, v4
	v_add_u32_e32 v8, v9, v8
	v_add_u32_e32 v8, v8, v11
	v_mul_hi_u32 v9, v4, v10
	v_mul_lo_u32 v11, v4, v8
	v_mul_hi_u32 v13, v4, v8
	v_mul_hi_u32 v12, v7, v10
	v_mul_lo_u32 v10, v7, v10
	v_mul_hi_u32 v14, v7, v8
	v_add_co_u32_e32 v9, vcc, v9, v11
	v_addc_co_u32_e32 v11, vcc, 0, v13, vcc
	v_mul_lo_u32 v8, v7, v8
	v_add_co_u32_e32 v9, vcc, v9, v10
	v_addc_co_u32_e32 v9, vcc, v11, v12, vcc
	v_addc_co_u32_e32 v10, vcc, 0, v14, vcc
	v_add_co_u32_e32 v8, vcc, v9, v8
	v_addc_co_u32_e32 v9, vcc, 0, v10, vcc
	v_add_co_u32_e32 v4, vcc, v4, v8
	v_addc_co_u32_e32 v7, vcc, v7, v9, vcc
	v_mul_lo_u32 v8, s0, v7
	v_mul_hi_u32 v9, s0, v4
	v_mul_lo_u32 v10, s1, v4
	v_mul_lo_u32 v11, s0, v4
	v_add_u32_e32 v8, v9, v8
	v_add_u32_e32 v8, v8, v10
	v_mul_lo_u32 v12, v4, v8
	v_mul_hi_u32 v13, v4, v11
	v_mul_hi_u32 v14, v4, v8
	;; [unrolled: 1-line block ×3, first 2 shown]
	v_mul_lo_u32 v11, v7, v11
	v_mul_hi_u32 v9, v7, v8
	v_add_co_u32_e32 v12, vcc, v13, v12
	v_addc_co_u32_e32 v13, vcc, 0, v14, vcc
	v_mul_lo_u32 v8, v7, v8
	v_add_co_u32_e32 v11, vcc, v12, v11
	v_addc_co_u32_e32 v10, vcc, v13, v10, vcc
	v_addc_co_u32_e32 v9, vcc, 0, v9, vcc
	v_add_co_u32_e32 v8, vcc, v10, v8
	v_addc_co_u32_e32 v9, vcc, 0, v9, vcc
	v_add_co_u32_e32 v4, vcc, v4, v8
	v_addc_co_u32_e32 v9, vcc, v7, v9, vcc
	v_mad_u64_u32 v[7:8], s[0:1], v5, v9, 0
	v_mul_hi_u32 v10, v5, v4
	v_add_co_u32_e32 v11, vcc, v10, v7
	v_addc_co_u32_e32 v12, vcc, 0, v8, vcc
	v_mad_u64_u32 v[7:8], s[0:1], v6, v4, 0
	v_mad_u64_u32 v[9:10], s[0:1], v6, v9, 0
	v_add_co_u32_e32 v4, vcc, v11, v7
	v_addc_co_u32_e32 v4, vcc, v12, v8, vcc
	v_addc_co_u32_e32 v7, vcc, 0, v10, vcc
	v_add_co_u32_e32 v4, vcc, v4, v9
	v_addc_co_u32_e32 v9, vcc, 0, v7, vcc
	v_mul_lo_u32 v10, s19, v4
	v_mul_lo_u32 v11, s18, v9
	v_mad_u64_u32 v[7:8], s[0:1], s18, v4, 0
	v_add3_u32 v8, v8, v11, v10
	v_sub_u32_e32 v10, v6, v8
	v_mov_b32_e32 v11, s19
	v_sub_co_u32_e32 v7, vcc, v5, v7
	v_subb_co_u32_e64 v10, s[0:1], v10, v11, vcc
	v_subrev_co_u32_e64 v11, s[0:1], s18, v7
	v_subbrev_co_u32_e64 v10, s[0:1], 0, v10, s[0:1]
	v_cmp_le_u32_e64 s[0:1], s19, v10
	v_cndmask_b32_e64 v12, 0, -1, s[0:1]
	v_cmp_le_u32_e64 s[0:1], s18, v11
	v_cndmask_b32_e64 v11, 0, -1, s[0:1]
	v_cmp_eq_u32_e64 s[0:1], s19, v10
	v_cndmask_b32_e64 v10, v12, v11, s[0:1]
	v_add_co_u32_e64 v11, s[0:1], 2, v4
	v_addc_co_u32_e64 v12, s[0:1], 0, v9, s[0:1]
	v_add_co_u32_e64 v13, s[0:1], 1, v4
	v_addc_co_u32_e64 v14, s[0:1], 0, v9, s[0:1]
	v_subb_co_u32_e32 v8, vcc, v6, v8, vcc
	v_cmp_ne_u32_e64 s[0:1], 0, v10
	v_cmp_le_u32_e32 vcc, s19, v8
	v_cndmask_b32_e64 v10, v14, v12, s[0:1]
	v_cndmask_b32_e64 v12, 0, -1, vcc
	v_cmp_le_u32_e32 vcc, s18, v7
	v_cndmask_b32_e64 v7, 0, -1, vcc
	v_cmp_eq_u32_e32 vcc, s19, v8
	v_cndmask_b32_e32 v7, v12, v7, vcc
	v_cmp_ne_u32_e32 vcc, 0, v7
	v_cndmask_b32_e64 v7, v13, v11, s[0:1]
	v_cndmask_b32_e32 v8, v9, v10, vcc
	v_cndmask_b32_e32 v7, v4, v7, vcc
.LBB0_4:                                ;   in Loop: Header=BB0_2 Depth=1
	s_andn2_saveexec_b64 s[0:1], s[20:21]
	s_cbranch_execz .LBB0_6
; %bb.5:                                ;   in Loop: Header=BB0_2 Depth=1
	v_cvt_f32_u32_e32 v4, s18
	s_sub_i32 s20, 0, s18
	v_rcp_iflag_f32_e32 v4, v4
	v_mul_f32_e32 v4, 0x4f7ffffe, v4
	v_cvt_u32_f32_e32 v4, v4
	v_mul_lo_u32 v7, s20, v4
	v_mul_hi_u32 v7, v4, v7
	v_add_u32_e32 v4, v4, v7
	v_mul_hi_u32 v4, v5, v4
	v_mul_lo_u32 v7, v4, s18
	v_add_u32_e32 v8, 1, v4
	v_sub_u32_e32 v7, v5, v7
	v_subrev_u32_e32 v9, s18, v7
	v_cmp_le_u32_e32 vcc, s18, v7
	v_cndmask_b32_e32 v7, v7, v9, vcc
	v_cndmask_b32_e32 v4, v4, v8, vcc
	v_add_u32_e32 v8, 1, v4
	v_cmp_le_u32_e32 vcc, s18, v7
	v_cndmask_b32_e32 v7, v4, v8, vcc
	v_mov_b32_e32 v8, v3
.LBB0_6:                                ;   in Loop: Header=BB0_2 Depth=1
	s_or_b64 exec, exec, s[0:1]
	v_mul_lo_u32 v4, v8, s18
	v_mul_lo_u32 v11, v7, s19
	v_mad_u64_u32 v[9:10], s[0:1], v7, s18, 0
	s_load_dwordx2 s[0:1], s[6:7], 0x0
	s_add_u32 s16, s16, 1
	v_add3_u32 v4, v10, v11, v4
	v_sub_co_u32_e32 v5, vcc, v5, v9
	v_subb_co_u32_e32 v4, vcc, v6, v4, vcc
	s_waitcnt lgkmcnt(0)
	v_mul_lo_u32 v4, s0, v4
	v_mul_lo_u32 v6, s1, v5
	v_mad_u64_u32 v[1:2], s[0:1], s0, v5, v[1:2]
	s_addc_u32 s17, s17, 0
	s_add_u32 s6, s6, 8
	v_add3_u32 v2, v6, v2, v4
	v_mov_b32_e32 v4, s10
	v_mov_b32_e32 v5, s11
	s_addc_u32 s7, s7, 0
	v_cmp_ge_u64_e32 vcc, s[16:17], v[4:5]
	s_add_u32 s14, s14, 8
	s_addc_u32 s15, s15, 0
	s_cbranch_vccnz .LBB0_9
; %bb.7:                                ;   in Loop: Header=BB0_2 Depth=1
	v_mov_b32_e32 v5, v7
	v_mov_b32_e32 v6, v8
	s_branch .LBB0_2
.LBB0_8:
	v_mov_b32_e32 v8, v6
	v_mov_b32_e32 v7, v5
.LBB0_9:
	s_lshl_b64 s[0:1], s[10:11], 3
	s_add_u32 s0, s12, s0
	s_addc_u32 s1, s13, s1
	s_load_dwordx2 s[6:7], s[0:1], 0x0
	s_load_dwordx2 s[10:11], s[4:5], 0x20
                                        ; implicit-def: $vgpr22
                                        ; implicit-def: $vgpr21
                                        ; implicit-def: $vgpr20
                                        ; implicit-def: $vgpr19
	s_waitcnt lgkmcnt(0)
	v_mul_lo_u32 v3, s6, v8
	v_mul_lo_u32 v4, s7, v7
	v_mad_u64_u32 v[1:2], s[0:1], s6, v7, v[1:2]
	v_cmp_gt_u64_e32 vcc, s[10:11], v[7:8]
	v_cmp_le_u64_e64 s[0:1], s[10:11], v[7:8]
	v_add3_u32 v2, v4, v2, v3
	s_and_saveexec_b64 s[4:5], s[0:1]
	s_xor_b64 s[0:1], exec, s[4:5]
; %bb.10:
	v_or_b32_e32 v22, 0x80, v0
	v_or_b32_e32 v21, 0x100, v0
	;; [unrolled: 1-line block ×4, first 2 shown]
; %bb.11:
	s_or_saveexec_b64 s[4:5], s[0:1]
	v_lshlrev_b64 v[17:18], 4, v[1:2]
	v_lshlrev_b32_e32 v73, 4, v0
	s_xor_b64 exec, exec, s[4:5]
	s_cbranch_execz .LBB0_13
; %bb.12:
	v_mov_b32_e32 v1, s3
	v_add_co_u32_e64 v72, s[0:1], s2, v17
	v_addc_co_u32_e64 v84, s[0:1], v1, v18, s[0:1]
	v_add_co_u32_e64 v9, s[0:1], v72, v73
	v_addc_co_u32_e64 v10, s[0:1], 0, v84, s[0:1]
	v_or_b32_e32 v21, 0x100, v0
	global_load_dwordx4 v[1:4], v[9:10], off
	global_load_dwordx4 v[5:8], v[9:10], off offset:2048
	v_lshlrev_b32_e32 v9, 4, v21
	v_add_co_u32_e64 v22, s[0:1], v72, v9
	v_or_b32_e32 v20, 0x180, v0
	v_addc_co_u32_e64 v23, s[0:1], 0, v84, s[0:1]
	v_lshlrev_b32_e32 v9, 4, v20
	v_add_co_u32_e64 v24, s[0:1], v72, v9
	v_or_b32_e32 v19, 0x200, v0
	v_addc_co_u32_e64 v25, s[0:1], 0, v84, s[0:1]
	global_load_dwordx4 v[9:12], v[22:23], off
	global_load_dwordx4 v[13:16], v[24:25], off
	v_lshlrev_b32_e32 v23, 4, v19
	v_add_co_u32_e64 v30, s[0:1], v72, v23
	v_or_b32_e32 v22, 0x2800, v73
	v_addc_co_u32_e64 v31, s[0:1], 0, v84, s[0:1]
	v_add_co_u32_e64 v32, s[0:1], v72, v22
	v_addc_co_u32_e64 v33, s[0:1], 0, v84, s[0:1]
	v_or_b32_e32 v92, 0x3800, v73
	v_add_co_u32_e64 v38, s[0:1], v72, v92
	global_load_dwordx4 v[22:25], v[30:31], off
	global_load_dwordx4 v[26:29], v[32:33], off
	v_addc_co_u32_e64 v39, s[0:1], 0, v84, s[0:1]
	v_or_b32_e32 v30, 0x3000, v73
	v_add_co_u32_e64 v40, s[0:1], v72, v30
	v_addc_co_u32_e64 v41, s[0:1], 0, v84, s[0:1]
	global_load_dwordx4 v[30:33], v[38:39], off
	global_load_dwordx4 v[34:37], v[40:41], off
	v_or_b32_e32 v38, 0x4000, v73
	v_add_co_u32_e64 v46, s[0:1], v72, v38
	v_or_b32_e32 v39, 0x4800, v73
	v_addc_co_u32_e64 v47, s[0:1], 0, v84, s[0:1]
	v_add_co_u32_e64 v48, s[0:1], v72, v39
	v_addc_co_u32_e64 v49, s[0:1], 0, v84, s[0:1]
	global_load_dwordx4 v[38:41], v[46:47], off
	global_load_dwordx4 v[42:45], v[48:49], off
	v_or_b32_e32 v46, 0x5000, v73
	v_add_co_u32_e64 v54, s[0:1], v72, v46
	v_or_b32_e32 v47, 0x5800, v73
	v_addc_co_u32_e64 v55, s[0:1], 0, v84, s[0:1]
	v_add_co_u32_e64 v56, s[0:1], v72, v47
	v_addc_co_u32_e64 v57, s[0:1], 0, v84, s[0:1]
	global_load_dwordx4 v[46:49], v[54:55], off
	global_load_dwordx4 v[50:53], v[56:57], off
	v_or_b32_e32 v54, 0x6000, v73
	v_add_co_u32_e64 v62, s[0:1], v72, v54
	v_addc_co_u32_e64 v63, s[0:1], 0, v84, s[0:1]
	v_or_b32_e32 v54, 0x6800, v73
	v_add_co_u32_e64 v64, s[0:1], v72, v54
	v_addc_co_u32_e64 v65, s[0:1], 0, v84, s[0:1]
	global_load_dwordx4 v[54:57], v[62:63], off
	global_load_dwordx4 v[58:61], v[64:65], off
	v_or_b32_e32 v62, 0x7000, v73
	v_add_co_u32_e64 v70, s[0:1], v72, v62
	v_addc_co_u32_e64 v71, s[0:1], 0, v84, s[0:1]
	v_or_b32_e32 v93, 0x7800, v73
	;; [unrolled: 8-line block ×4, first 2 shown]
	v_add_co_u32_e64 v90, s[0:1], v72, v82
	v_addc_co_u32_e64 v91, s[0:1], 0, v84, s[0:1]
	global_load_dwordx4 v[82:85], v[70:71], off
	global_load_dwordx4 v[86:89], v[90:91], off
	v_add_u32_e32 v70, 0, v73
	s_waitcnt vmcnt(19)
	ds_write_b128 v70, v[1:4]
	s_waitcnt vmcnt(18)
	ds_write_b128 v70, v[5:8] offset:2048
	s_waitcnt vmcnt(17)
	ds_write_b128 v70, v[9:12] offset:4096
	;; [unrolled: 2-line block ×4, first 2 shown]
	v_add_u32_e32 v1, 0, v92
	s_waitcnt vmcnt(14)
	ds_write_b128 v70, v[26:29] offset:10240
	s_waitcnt vmcnt(13)
	ds_write_b128 v1, v[30:33]
	s_waitcnt vmcnt(12)
	ds_write_b128 v70, v[34:37] offset:12288
	s_waitcnt vmcnt(11)
	ds_write_b128 v70, v[38:41] offset:16384
	;; [unrolled: 2-line block ×8, first 2 shown]
	v_add_u32_e32 v1, 0, v93
	v_or_b32_e32 v22, 0x80, v0
	s_waitcnt vmcnt(4)
	ds_write_b128 v1, v[66:69]
	s_waitcnt vmcnt(3)
	ds_write_b128 v70, v[74:77] offset:32768
	s_waitcnt vmcnt(2)
	ds_write_b128 v70, v[78:81] offset:34816
	s_waitcnt vmcnt(1)
	ds_write_b128 v70, v[82:85] offset:36864
	s_waitcnt vmcnt(0)
	ds_write_b128 v70, v[86:89] offset:38912
.LBB0_13:
	s_or_b64 exec, exec, s[4:5]
	v_add_u32_e32 v74, 0, v73
	s_waitcnt lgkmcnt(0)
	s_barrier
	ds_read_b128 v[1:4], v74 offset:20480
	ds_read_b128 v[5:8], v74
	ds_read_b128 v[9:12], v74 offset:30720
	ds_read_b128 v[13:16], v74 offset:2048
	;; [unrolled: 1-line block ×4, first 2 shown]
	s_waitcnt lgkmcnt(4)
	v_add_f64 v[71:72], v[5:6], -v[1:2]
	v_add_f64 v[75:76], v[7:8], -v[3:4]
	ds_read_b128 v[1:4], v74 offset:8192
	ds_read_b128 v[31:34], v74 offset:28672
	s_waitcnt lgkmcnt(3)
	v_add_f64 v[89:90], v[13:14], -v[23:24]
	s_waitcnt lgkmcnt(2)
	v_add_f64 v[77:78], v[27:28], -v[9:10]
	v_add_f64 v[87:88], v[29:30], -v[11:12]
	;; [unrolled: 1-line block ×3, first 2 shown]
	v_mad_u32_u24 v103, v0, 48, v74
	v_fma_f64 v[51:52], v[5:6], 2.0, -v[71:72]
	v_fma_f64 v[53:54], v[7:8], 2.0, -v[75:76]
	s_movk_i32 s0, 0xffd0
	s_mov_b32 s12, 0x134454ff
	v_fma_f64 v[5:6], v[27:28], 2.0, -v[77:78]
	v_fma_f64 v[7:8], v[29:30], 2.0, -v[87:88]
	ds_read_b128 v[9:12], v74 offset:12288
	ds_read_b128 v[27:30], v74 offset:14336
	;; [unrolled: 1-line block ×12, first 2 shown]
	s_waitcnt lgkmcnt(9)
	v_add_f64 v[93:94], v[9:10], -v[35:36]
	v_add_f64 v[35:36], v[11:12], -v[37:38]
	v_add_f64 v[23:24], v[71:72], v[87:88]
	v_fma_f64 v[87:88], v[13:14], 2.0, -v[89:90]
	v_fma_f64 v[95:96], v[15:16], 2.0, -v[91:92]
	s_waitcnt lgkmcnt(5)
	v_add_f64 v[55:56], v[43:44], -v[55:56]
	v_add_f64 v[97:98], v[27:28], -v[39:40]
	;; [unrolled: 1-line block ×3, first 2 shown]
	v_fma_f64 v[13:14], v[9:10], 2.0, -v[93:94]
	v_fma_f64 v[11:12], v[11:12], 2.0, -v[35:36]
	v_add_f64 v[7:8], v[53:54], -v[7:8]
	v_add_f64 v[25:26], v[75:76], -v[77:78]
	v_add_f64 v[57:58], v[45:46], -v[57:58]
	v_add_f64 v[99:100], v[29:30], -v[41:42]
	v_fma_f64 v[9:10], v[71:72], 2.0, -v[23:24]
	v_add_f64 v[35:36], v[89:90], v[35:36]
	v_add_f64 v[13:14], v[87:88], -v[13:14]
	v_add_f64 v[15:16], v[95:96], -v[11:12]
	v_fma_f64 v[71:72], v[43:44], 2.0, -v[55:56]
	v_fma_f64 v[41:42], v[27:28], 2.0, -v[97:98]
	v_add_f64 v[37:38], v[91:92], -v[93:94]
	v_fma_f64 v[51:52], v[51:52], 2.0, -v[5:6]
	v_fma_f64 v[53:54], v[53:54], 2.0, -v[7:8]
	;; [unrolled: 1-line block ×8, first 2 shown]
	v_add_f64 v[43:44], v[71:72], -v[41:42]
	v_fma_f64 v[41:42], v[91:92], 2.0, -v[37:38]
	v_lshl_add_u32 v78, v22, 6, 0
	s_waitcnt lgkmcnt(0)
	s_barrier
	ds_write_b128 v103, v[51:54]
	v_add_f64 v[45:46], v[101:102], -v[45:46]
	ds_write_b128 v103, v[9:12] offset:16
	ds_write_b128 v103, v[5:8] offset:32
	;; [unrolled: 1-line block ×3, first 2 shown]
	ds_write_b128 v78, v[27:30]
	ds_write_b128 v78, v[39:42] offset:16
	ds_write_b128 v78, v[13:16] offset:32
	;; [unrolled: 1-line block ×3, first 2 shown]
	v_add_f64 v[35:36], v[47:48], -v[59:60]
	v_add_f64 v[23:24], v[63:64], -v[79:80]
	;; [unrolled: 1-line block ×8, first 2 shown]
	v_fma_f64 v[5:6], v[71:72], 2.0, -v[43:44]
	v_fma_f64 v[7:8], v[101:102], 2.0, -v[45:46]
	v_add_f64 v[9:10], v[55:56], v[99:100]
	v_add_f64 v[11:12], v[57:58], -v[97:98]
	v_fma_f64 v[27:28], v[47:48], 2.0, -v[35:36]
	v_fma_f64 v[13:14], v[63:64], 2.0, -v[23:24]
	;; [unrolled: 1-line block ×4, first 2 shown]
	v_lshl_add_u32 v77, v21, 6, 0
	v_fma_f64 v[47:48], v[1:2], 2.0, -v[39:40]
	v_fma_f64 v[49:50], v[3:4], 2.0, -v[41:42]
	;; [unrolled: 1-line block ×4, first 2 shown]
	ds_write_b128 v77, v[5:8]
	v_fma_f64 v[5:6], v[55:56], 2.0, -v[9:10]
	v_fma_f64 v[7:8], v[57:58], 2.0, -v[11:12]
	v_add_f64 v[13:14], v[27:28], -v[13:14]
	v_add_f64 v[15:16], v[33:34], -v[15:16]
	v_add_f64 v[1:2], v[35:36], v[25:26]
	v_add_f64 v[3:4], v[37:38], -v[23:24]
	v_add_f64 v[23:24], v[47:48], -v[51:52]
	;; [unrolled: 1-line block ×3, first 2 shown]
	ds_write_b128 v77, v[5:8] offset:16
	ds_write_b128 v77, v[43:46] offset:32
	v_fma_f64 v[5:6], v[27:28], 2.0, -v[13:14]
	v_add_f64 v[27:28], v[39:40], v[31:32]
	v_add_f64 v[29:30], v[41:42], -v[29:30]
	v_fma_f64 v[7:8], v[33:34], 2.0, -v[15:16]
	v_fma_f64 v[31:32], v[35:36], 2.0, -v[1:2]
	;; [unrolled: 1-line block ×3, first 2 shown]
	ds_write_b128 v77, v[9:12] offset:48
	v_fma_f64 v[9:10], v[47:48], 2.0, -v[23:24]
	v_fma_f64 v[11:12], v[49:50], 2.0, -v[25:26]
	;; [unrolled: 1-line block ×4, first 2 shown]
	v_lshl_add_u32 v76, v20, 6, 0
	ds_write_b128 v76, v[5:8]
	ds_write_b128 v76, v[31:34] offset:16
	ds_write_b128 v76, v[13:16] offset:32
	;; [unrolled: 1-line block ×3, first 2 shown]
	v_and_b32_e32 v6, 3, v0
	v_mul_u32_u24_e32 v1, 3, v6
	v_lshl_add_u32 v75, v19, 6, 0
	v_lshlrev_b32_e32 v5, 4, v1
	ds_write_b128 v75, v[9:12]
	ds_write_b128 v75, v[35:38] offset:16
	ds_write_b128 v75, v[23:26] offset:32
	;; [unrolled: 1-line block ×3, first 2 shown]
	s_waitcnt lgkmcnt(0)
	s_barrier
	global_load_dwordx4 v[1:4], v5, s[8:9]
	global_load_dwordx4 v[7:10], v5, s[8:9] offset:16
	global_load_dwordx4 v[11:14], v5, s[8:9] offset:32
	ds_read_b128 v[23:26], v74 offset:10240
	ds_read_b128 v[27:30], v74 offset:12288
	ds_read_b128 v[31:34], v74
	ds_read_b128 v[35:38], v74 offset:14336
	s_mov_b32 s13, 0xbfee6f0e
	s_mov_b32 s1, 0x3fee6f0e
	;; [unrolled: 1-line block ×14, first 2 shown]
	s_waitcnt vmcnt(2) lgkmcnt(3)
	v_mul_f64 v[15:16], v[25:26], v[3:4]
	v_mul_f64 v[39:40], v[23:24], v[3:4]
	s_waitcnt lgkmcnt(2)
	v_mul_f64 v[41:42], v[29:30], v[3:4]
	v_mul_f64 v[43:44], v[27:28], v[3:4]
	v_fma_f64 v[15:16], v[23:24], v[1:2], v[15:16]
	v_fma_f64 v[47:48], v[25:26], v[1:2], -v[39:40]
	ds_read_b128 v[23:26], v74 offset:16384
	s_waitcnt lgkmcnt(1)
	v_mul_f64 v[45:46], v[37:38], v[3:4]
	v_fma_f64 v[49:50], v[27:28], v[1:2], v[41:42]
	v_mul_f64 v[51:52], v[35:36], v[3:4]
	v_fma_f64 v[53:54], v[29:30], v[1:2], -v[43:44]
	ds_read_b128 v[27:30], v74 offset:18432
	ds_read_b128 v[39:42], v74 offset:20480
	s_waitcnt lgkmcnt(2)
	v_mul_f64 v[43:44], v[25:26], v[3:4]
	v_fma_f64 v[55:56], v[35:36], v[1:2], v[45:46]
	v_mul_f64 v[45:46], v[23:24], v[3:4]
	s_waitcnt lgkmcnt(1)
	v_mul_f64 v[57:58], v[29:30], v[3:4]
	v_mul_f64 v[3:4], v[27:28], v[3:4]
	v_fma_f64 v[51:52], v[37:38], v[1:2], -v[51:52]
	ds_read_b128 v[35:38], v74 offset:22528
	s_waitcnt vmcnt(1) lgkmcnt(1)
	v_mul_f64 v[59:60], v[41:42], v[9:10]
	v_mul_f64 v[61:62], v[39:40], v[9:10]
	v_fma_f64 v[63:64], v[23:24], v[1:2], v[43:44]
	v_fma_f64 v[65:66], v[25:26], v[1:2], -v[45:46]
	v_fma_f64 v[57:58], v[27:28], v[1:2], v[57:58]
	v_fma_f64 v[67:68], v[29:30], v[1:2], -v[3:4]
	ds_read_b128 v[1:4], v74 offset:24576
	s_waitcnt lgkmcnt(1)
	v_mul_f64 v[27:28], v[37:38], v[9:10]
	v_fma_f64 v[43:44], v[39:40], v[7:8], v[59:60]
	v_mul_f64 v[59:60], v[35:36], v[9:10]
	v_fma_f64 v[45:46], v[41:42], v[7:8], -v[61:62]
	ds_read_b128 v[23:26], v74 offset:26624
	s_waitcnt lgkmcnt(1)
	v_mul_f64 v[61:62], v[3:4], v[9:10]
	v_fma_f64 v[69:70], v[35:36], v[7:8], v[27:28]
	ds_read_b128 v[27:30], v74 offset:28672
	ds_read_b128 v[39:42], v74 offset:30720
	v_mul_f64 v[35:36], v[1:2], v[9:10]
	v_fma_f64 v[59:60], v[37:38], v[7:8], -v[59:60]
	s_waitcnt lgkmcnt(2)
	v_mul_f64 v[71:72], v[25:26], v[9:10]
	v_mul_f64 v[79:80], v[23:24], v[9:10]
	s_waitcnt vmcnt(0) lgkmcnt(0)
	v_mul_f64 v[37:38], v[41:42], v[13:14]
	v_mul_f64 v[81:82], v[39:40], v[13:14]
	v_fma_f64 v[61:62], v[1:2], v[7:8], v[61:62]
	v_mul_f64 v[83:84], v[29:30], v[9:10]
	v_fma_f64 v[85:86], v[3:4], v[7:8], -v[35:36]
	ds_read_b128 v[1:4], v74 offset:32768
	v_mul_f64 v[9:10], v[27:28], v[9:10]
	v_add_f64 v[43:44], v[31:32], -v[43:44]
	v_fma_f64 v[35:36], v[39:40], v[11:12], v[37:38]
	v_fma_f64 v[37:38], v[41:42], v[11:12], -v[81:82]
	v_add_f64 v[45:46], v[33:34], -v[45:46]
	v_fma_f64 v[71:72], v[23:24], v[7:8], v[71:72]
	v_fma_f64 v[87:88], v[25:26], v[7:8], -v[79:80]
	ds_read_b128 v[23:26], v74 offset:34816
	s_waitcnt lgkmcnt(1)
	v_mul_f64 v[39:40], v[3:4], v[13:14]
	v_mul_f64 v[41:42], v[1:2], v[13:14]
	v_add_f64 v[91:92], v[15:16], -v[35:36]
	v_add_f64 v[93:94], v[47:48], -v[37:38]
	v_fma_f64 v[83:84], v[27:28], v[7:8], v[83:84]
	v_fma_f64 v[89:90], v[29:30], v[7:8], -v[9:10]
	v_fma_f64 v[27:28], v[31:32], 2.0, -v[43:44]
	v_fma_f64 v[29:30], v[33:34], 2.0, -v[45:46]
	v_fma_f64 v[95:96], v[1:2], v[11:12], v[39:40]
	v_fma_f64 v[97:98], v[3:4], v[11:12], -v[41:42]
	v_fma_f64 v[15:16], v[15:16], 2.0, -v[91:92]
	v_fma_f64 v[31:32], v[47:48], 2.0, -v[93:94]
	ds_read_b128 v[1:4], v74 offset:36864
	ds_read_b128 v[7:10], v74 offset:38912
	s_waitcnt lgkmcnt(2)
	v_mul_f64 v[33:34], v[25:26], v[13:14]
	v_mul_f64 v[35:36], v[23:24], v[13:14]
	v_mad_i32_i24 v82, v22, s0, v78
	s_waitcnt lgkmcnt(1)
	v_mul_f64 v[37:38], v[3:4], v[13:14]
	v_mul_f64 v[39:40], v[1:2], v[13:14]
	s_waitcnt lgkmcnt(0)
	v_mul_f64 v[41:42], v[9:10], v[13:14]
	v_mul_f64 v[47:48], v[7:8], v[13:14]
	v_add_f64 v[13:14], v[27:28], -v[15:16]
	v_add_f64 v[15:16], v[29:30], -v[31:32]
	v_fma_f64 v[99:100], v[23:24], v[11:12], v[33:34]
	v_fma_f64 v[101:102], v[25:26], v[11:12], -v[35:36]
	v_fma_f64 v[103:104], v[1:2], v[11:12], v[37:38]
	v_mad_i32_i24 v81, v21, s0, v77
	v_fma_f64 v[107:108], v[7:8], v[11:12], v[41:42]
	v_fma_f64 v[47:48], v[9:10], v[11:12], -v[47:48]
	v_fma_f64 v[7:8], v[27:28], 2.0, -v[13:14]
	v_fma_f64 v[9:10], v[29:30], 2.0, -v[15:16]
	v_mad_i32_i24 v80, v20, s0, v76
	v_mad_i32_i24 v79, v19, s0, v75
	ds_read_b128 v[23:26], v82
	ds_read_b128 v[27:30], v81
	;; [unrolled: 1-line block ×4, first 2 shown]
	v_fma_f64 v[105:106], v[3:4], v[11:12], -v[39:40]
	s_waitcnt lgkmcnt(3)
	v_add_f64 v[1:2], v[23:24], -v[69:70]
	v_add_f64 v[4:5], v[25:26], -v[59:60]
	;; [unrolled: 1-line block ×4, first 2 shown]
	v_add_f64 v[39:40], v[43:44], v[93:94]
	v_add_f64 v[41:42], v[45:46], -v[91:92]
	s_movk_i32 s0, 0x1f0
	v_lshlrev_b32_e32 v3, 2, v0
	v_fma_f64 v[23:24], v[23:24], 2.0, -v[1:2]
	v_fma_f64 v[25:26], v[25:26], 2.0, -v[4:5]
	;; [unrolled: 1-line block ×6, first 2 shown]
	v_and_or_b32 v69, v3, s0, v6
	v_lshl_add_u32 v69, v69, 4, 0
	s_waitcnt lgkmcnt(0)
	s_barrier
	ds_write_b128 v69, v[7:10]
	ds_write_b128 v69, v[43:46] offset:64
	ds_write_b128 v69, v[13:16] offset:128
	;; [unrolled: 1-line block ×3, first 2 shown]
	v_add_f64 v[7:8], v[23:24], -v[49:50]
	v_add_f64 v[9:10], v[25:26], -v[53:54]
	;; [unrolled: 1-line block ×6, first 2 shown]
	v_add_f64 v[11:12], v[1:2], v[11:12]
	v_add_f64 v[13:14], v[4:5], -v[59:60]
	v_fma_f64 v[23:24], v[23:24], 2.0, -v[7:8]
	v_fma_f64 v[25:26], v[25:26], 2.0, -v[9:10]
	;; [unrolled: 1-line block ×8, first 2 shown]
	s_movk_i32 s0, 0x3f0
	v_lshlrev_b32_e32 v4, 2, v22
	v_and_or_b32 v1, v4, s0, v6
	v_lshl_add_u32 v1, v1, 4, 0
	v_add_f64 v[39:40], v[53:54], -v[39:40]
	v_add_f64 v[41:42], v[59:60], -v[41:42]
	ds_write_b128 v1, v[23:26]
	ds_write_b128 v1, v[27:30] offset:64
	v_add_f64 v[23:24], v[15:16], v[49:50]
	v_add_f64 v[25:26], v[43:44], -v[45:46]
	ds_write_b128 v1, v[7:10] offset:128
	ds_write_b128 v1, v[11:14] offset:192
	v_add_f64 v[29:30], v[33:34], -v[87:88]
	v_add_f64 v[27:28], v[63:64], -v[103:104]
	v_fma_f64 v[7:8], v[53:54], 2.0, -v[39:40]
	v_fma_f64 v[9:10], v[59:60], 2.0, -v[41:42]
	s_movk_i32 s0, 0x5f0
	v_fma_f64 v[11:12], v[15:16], 2.0, -v[23:24]
	v_fma_f64 v[13:14], v[43:44], 2.0, -v[25:26]
	v_add_f64 v[15:16], v[31:32], -v[71:72]
	v_add_f64 v[43:44], v[65:66], -v[105:106]
	v_lshlrev_b32_e32 v1, 2, v21
	v_and_or_b32 v2, v1, s0, v6
	v_lshl_add_u32 v2, v2, 4, 0
	ds_write_b128 v2, v[7:10]
	ds_write_b128 v2, v[11:14] offset:64
	v_fma_f64 v[33:34], v[33:34], 2.0, -v[29:30]
	v_fma_f64 v[31:32], v[31:32], 2.0, -v[15:16]
	;; [unrolled: 1-line block ×4, first 2 shown]
	ds_write_b128 v2, v[39:42] offset:128
	ds_write_b128 v2, v[23:26] offset:192
	v_add_f64 v[39:40], v[35:36], -v[83:84]
	v_add_f64 v[41:42], v[37:38], -v[89:90]
	v_add_f64 v[45:46], v[57:58], -v[107:108]
	v_add_f64 v[47:48], v[67:68], -v[47:48]
	v_add_f64 v[11:12], v[15:16], v[43:44]
	v_add_f64 v[7:8], v[31:32], -v[7:8]
	v_add_f64 v[9:10], v[33:34], -v[9:10]
	;; [unrolled: 1-line block ×3, first 2 shown]
	v_fma_f64 v[43:44], v[35:36], 2.0, -v[39:40]
	v_fma_f64 v[49:50], v[37:38], 2.0, -v[41:42]
	;; [unrolled: 1-line block ×8, first 2 shown]
	s_movk_i32 s0, 0x7f0
	v_lshlrev_b32_e32 v2, 2, v20
	v_add_f64 v[31:32], v[43:44], -v[35:36]
	v_add_f64 v[33:34], v[49:50], -v[37:38]
	v_add_f64 v[35:36], v[39:40], v[47:48]
	v_add_f64 v[37:38], v[41:42], -v[45:46]
	v_and_or_b32 v5, v2, s0, v6
	v_lshl_add_u32 v5, v5, 4, 0
	ds_write_b128 v5, v[23:26]
	ds_write_b128 v5, v[27:30] offset:64
	ds_write_b128 v5, v[7:10] offset:128
	ds_write_b128 v5, v[11:14] offset:192
	v_fma_f64 v[23:24], v[43:44], 2.0, -v[31:32]
	v_fma_f64 v[25:26], v[49:50], 2.0, -v[33:34]
	;; [unrolled: 1-line block ×4, first 2 shown]
	s_movk_i32 s0, 0x9f0
	v_lshlrev_b32_e32 v5, 2, v19
	v_and_or_b32 v6, v5, s0, v6
	v_lshl_add_u32 v6, v6, 4, 0
	ds_write_b128 v6, v[23:26]
	ds_write_b128 v6, v[27:30] offset:64
	ds_write_b128 v6, v[31:34] offset:128
	;; [unrolled: 1-line block ×3, first 2 shown]
	v_and_b32_e32 v6, 15, v0
	v_mul_u32_u24_e32 v7, 3, v6
	v_lshlrev_b32_e32 v15, 4, v7
	s_waitcnt lgkmcnt(0)
	s_barrier
	global_load_dwordx4 v[7:10], v15, s[8:9] offset:192
	global_load_dwordx4 v[11:14], v15, s[8:9] offset:208
	;; [unrolled: 1-line block ×3, first 2 shown]
	ds_read_b128 v[27:30], v74 offset:10240
	ds_read_b128 v[31:34], v74 offset:12288
	ds_read_b128 v[35:38], v74
	ds_read_b128 v[39:42], v74 offset:14336
	s_movk_i32 s0, 0x1c0
	v_and_or_b32 v3, v3, s0, v6
	v_lshl_add_u32 v3, v3, 4, 0
	s_movk_i32 s0, 0x3c0
	s_waitcnt vmcnt(2) lgkmcnt(3)
	v_mul_f64 v[15:16], v[29:30], v[9:10]
	v_mul_f64 v[43:44], v[27:28], v[9:10]
	s_waitcnt lgkmcnt(2)
	v_mul_f64 v[45:46], v[33:34], v[9:10]
	v_mul_f64 v[47:48], v[31:32], v[9:10]
	v_fma_f64 v[51:52], v[27:28], v[7:8], v[15:16]
	v_fma_f64 v[53:54], v[29:30], v[7:8], -v[43:44]
	ds_read_b128 v[27:30], v74 offset:16384
	s_waitcnt lgkmcnt(1)
	v_mul_f64 v[49:50], v[41:42], v[9:10]
	v_fma_f64 v[55:56], v[31:32], v[7:8], v[45:46]
	v_mul_f64 v[15:16], v[39:40], v[9:10]
	v_fma_f64 v[47:48], v[33:34], v[7:8], -v[47:48]
	ds_read_b128 v[31:34], v74 offset:18432
	ds_read_b128 v[43:46], v74 offset:20480
	s_waitcnt lgkmcnt(2)
	v_mul_f64 v[57:58], v[29:30], v[9:10]
	v_mul_f64 v[59:60], v[27:28], v[9:10]
	v_fma_f64 v[49:50], v[39:40], v[7:8], v[49:50]
	s_waitcnt lgkmcnt(1)
	v_mul_f64 v[61:62], v[33:34], v[9:10]
	v_mul_f64 v[9:10], v[31:32], v[9:10]
	v_fma_f64 v[63:64], v[41:42], v[7:8], -v[15:16]
	ds_read_b128 v[39:42], v74 offset:22528
	s_waitcnt vmcnt(1) lgkmcnt(1)
	v_mul_f64 v[15:16], v[45:46], v[13:14]
	v_mul_f64 v[65:66], v[43:44], v[13:14]
	v_fma_f64 v[57:58], v[27:28], v[7:8], v[57:58]
	v_fma_f64 v[59:60], v[29:30], v[7:8], -v[59:60]
	v_fma_f64 v[61:62], v[31:32], v[7:8], v[61:62]
	v_fma_f64 v[67:68], v[33:34], v[7:8], -v[9:10]
	ds_read_b128 v[7:10], v74 offset:24576
	s_waitcnt lgkmcnt(1)
	v_mul_f64 v[31:32], v[41:42], v[13:14]
	v_fma_f64 v[69:70], v[43:44], v[11:12], v[15:16]
	v_mul_f64 v[15:16], v[39:40], v[13:14]
	v_fma_f64 v[65:66], v[45:46], v[11:12], -v[65:66]
	ds_read_b128 v[27:30], v74 offset:26624
	s_waitcnt lgkmcnt(1)
	v_mul_f64 v[71:72], v[9:10], v[13:14]
	v_fma_f64 v[83:84], v[39:40], v[11:12], v[31:32]
	ds_read_b128 v[31:34], v74 offset:28672
	ds_read_b128 v[43:46], v74 offset:30720
	v_mul_f64 v[39:40], v[7:8], v[13:14]
	s_waitcnt lgkmcnt(2)
	v_mul_f64 v[87:88], v[27:28], v[13:14]
	v_fma_f64 v[89:90], v[41:42], v[11:12], -v[15:16]
	v_mul_f64 v[85:86], v[29:30], v[13:14]
	s_waitcnt vmcnt(0) lgkmcnt(0)
	v_mul_f64 v[15:16], v[45:46], v[25:26]
	v_mul_f64 v[41:42], v[43:44], v[25:26]
	v_fma_f64 v[71:72], v[7:8], v[11:12], v[71:72]
	v_mul_f64 v[91:92], v[33:34], v[13:14]
	v_fma_f64 v[93:94], v[9:10], v[11:12], -v[39:40]
	v_fma_f64 v[87:88], v[29:30], v[11:12], -v[87:88]
	ds_read_b128 v[7:10], v74 offset:32768
	v_fma_f64 v[85:86], v[27:28], v[11:12], v[85:86]
	v_fma_f64 v[29:30], v[43:44], v[23:24], v[15:16]
	v_fma_f64 v[39:40], v[45:46], v[23:24], -v[41:42]
	v_mul_f64 v[27:28], v[31:32], v[13:14]
	ds_read_b128 v[13:16], v74 offset:34816
	v_add_f64 v[45:46], v[35:36], -v[69:70]
	v_add_f64 v[65:66], v[37:38], -v[65:66]
	s_waitcnt lgkmcnt(1)
	v_mul_f64 v[41:42], v[9:10], v[25:26]
	v_mul_f64 v[43:44], v[7:8], v[25:26]
	v_add_f64 v[69:70], v[51:52], -v[29:30]
	v_add_f64 v[39:40], v[53:54], -v[39:40]
	v_fma_f64 v[91:92], v[31:32], v[11:12], v[91:92]
	v_fma_f64 v[95:96], v[33:34], v[11:12], -v[27:28]
	v_fma_f64 v[11:12], v[35:36], 2.0, -v[45:46]
	v_fma_f64 v[35:36], v[37:38], 2.0, -v[65:66]
	v_fma_f64 v[97:98], v[7:8], v[23:24], v[41:42]
	s_waitcnt lgkmcnt(0)
	v_mul_f64 v[41:42], v[13:14], v[25:26]
	v_fma_f64 v[31:32], v[51:52], 2.0, -v[69:70]
	v_fma_f64 v[33:34], v[53:54], 2.0, -v[39:40]
	v_fma_f64 v[99:100], v[9:10], v[23:24], -v[43:44]
	ds_read_b128 v[7:10], v74 offset:36864
	ds_read_b128 v[27:30], v74 offset:38912
	v_mul_f64 v[37:38], v[15:16], v[25:26]
	v_add_f64 v[39:40], v[45:46], v[39:40]
	s_waitcnt lgkmcnt(1)
	v_mul_f64 v[43:44], v[9:10], v[25:26]
	v_mul_f64 v[51:52], v[7:8], v[25:26]
	s_waitcnt lgkmcnt(0)
	v_mul_f64 v[53:54], v[29:30], v[25:26]
	v_mul_f64 v[25:26], v[27:28], v[25:26]
	v_add_f64 v[31:32], v[11:12], -v[31:32]
	v_add_f64 v[33:34], v[35:36], -v[33:34]
	v_fma_f64 v[15:16], v[15:16], v[23:24], -v[41:42]
	v_add_f64 v[41:42], v[65:66], -v[69:70]
	v_fma_f64 v[101:102], v[13:14], v[23:24], v[37:38]
	v_fma_f64 v[103:104], v[7:8], v[23:24], v[43:44]
	v_fma_f64 v[51:52], v[9:10], v[23:24], -v[51:52]
	v_fma_f64 v[53:54], v[27:28], v[23:24], v[53:54]
	v_fma_f64 v[105:106], v[29:30], v[23:24], -v[25:26]
	v_fma_f64 v[7:8], v[11:12], 2.0, -v[31:32]
	v_fma_f64 v[9:10], v[35:36], 2.0, -v[33:34]
	ds_read_b128 v[11:14], v82
	ds_read_b128 v[23:26], v81
	;; [unrolled: 1-line block ×4, first 2 shown]
	v_fma_f64 v[43:44], v[45:46], 2.0, -v[39:40]
	s_waitcnt lgkmcnt(3)
	v_add_f64 v[69:70], v[11:12], -v[83:84]
	v_add_f64 v[83:84], v[55:56], -v[97:98]
	v_fma_f64 v[45:46], v[65:66], 2.0, -v[41:42]
	v_add_f64 v[65:66], v[13:14], -v[89:90]
	v_add_f64 v[89:90], v[47:48], -v[99:100]
	s_waitcnt lgkmcnt(0)
	s_barrier
	v_fma_f64 v[97:98], v[11:12], 2.0, -v[69:70]
	v_fma_f64 v[11:12], v[55:56], 2.0, -v[83:84]
	ds_write_b128 v3, v[7:10]
	ds_write_b128 v3, v[43:46] offset:256
	v_fma_f64 v[43:44], v[13:14], 2.0, -v[65:66]
	v_fma_f64 v[9:10], v[47:48], 2.0, -v[89:90]
	v_add_f64 v[45:46], v[23:24], -v[71:72]
	v_add_f64 v[47:48], v[49:50], -v[101:102]
	;; [unrolled: 1-line block ×5, first 2 shown]
	ds_write_b128 v3, v[31:34] offset:512
	ds_write_b128 v3, v[39:42] offset:768
	v_add_f64 v[11:12], v[69:70], v[89:90]
	v_add_f64 v[9:10], v[43:44], -v[9:10]
	v_add_f64 v[13:14], v[65:66], -v[83:84]
	v_fma_f64 v[71:72], v[23:24], 2.0, -v[45:46]
	v_fma_f64 v[39:40], v[49:50], 2.0, -v[47:48]
	;; [unrolled: 1-line block ×8, first 2 shown]
	v_and_or_b32 v3, v4, s0, v6
	v_add_f64 v[39:40], v[71:72], -v[39:40]
	v_lshl_add_u32 v3, v3, 4, 0
	v_add_f64 v[41:42], v[49:50], -v[41:42]
	s_movk_i32 s0, 0x5c0
	v_and_or_b32 v1, v1, s0, v6
	ds_write_b128 v3, v[31:34]
	v_add_f64 v[31:32], v[45:46], v[15:16]
	ds_write_b128 v3, v[23:26] offset:256
	ds_write_b128 v3, v[7:10] offset:512
	;; [unrolled: 1-line block ×3, first 2 shown]
	v_fma_f64 v[7:8], v[71:72], 2.0, -v[39:40]
	v_add_f64 v[3:4], v[27:28], -v[85:86]
	v_fma_f64 v[9:10], v[49:50], 2.0, -v[41:42]
	v_add_f64 v[15:16], v[29:30], -v[87:88]
	v_add_f64 v[25:26], v[57:58], -v[103:104]
	v_add_f64 v[23:24], v[59:60], -v[51:52]
	v_add_f64 v[33:34], v[55:56], -v[47:48]
	v_fma_f64 v[11:12], v[45:46], 2.0, -v[31:32]
	v_lshl_add_u32 v1, v1, 4, 0
	v_add_f64 v[43:44], v[35:36], -v[91:92]
	v_add_f64 v[45:46], v[37:38], -v[95:96]
	v_add_f64 v[47:48], v[61:62], -v[53:54]
	v_add_f64 v[49:50], v[67:68], -v[105:106]
	ds_write_b128 v1, v[7:10]
	v_fma_f64 v[27:28], v[27:28], 2.0, -v[3:4]
	v_fma_f64 v[29:30], v[29:30], 2.0, -v[15:16]
	;; [unrolled: 1-line block ×5, first 2 shown]
	ds_write_b128 v1, v[39:42] offset:512
	v_fma_f64 v[39:40], v[35:36], 2.0, -v[43:44]
	v_fma_f64 v[41:42], v[37:38], 2.0, -v[45:46]
	;; [unrolled: 1-line block ×4, first 2 shown]
	v_add_f64 v[7:8], v[27:28], -v[7:8]
	v_add_f64 v[9:10], v[29:30], -v[9:10]
	ds_write_b128 v1, v[11:14] offset:256
	v_add_f64 v[11:12], v[3:4], v[23:24]
	ds_write_b128 v1, v[31:34] offset:768
	v_add_f64 v[13:14], v[15:16], -v[25:26]
	v_add_f64 v[31:32], v[39:40], -v[35:36]
	;; [unrolled: 1-line block ×3, first 2 shown]
	v_fma_f64 v[23:24], v[27:28], 2.0, -v[7:8]
	v_fma_f64 v[25:26], v[29:30], 2.0, -v[9:10]
	v_add_f64 v[35:36], v[43:44], v[49:50]
	v_add_f64 v[37:38], v[45:46], -v[47:48]
	s_movk_i32 s0, 0x7c0
	v_and_or_b32 v1, v2, s0, v6
	v_fma_f64 v[27:28], v[3:4], 2.0, -v[11:12]
	v_fma_f64 v[29:30], v[15:16], 2.0, -v[13:14]
	v_lshl_add_u32 v15, v1, 4, 0
	v_fma_f64 v[1:2], v[39:40], 2.0, -v[31:32]
	v_fma_f64 v[3:4], v[41:42], 2.0, -v[33:34]
	ds_write_b128 v15, v[23:26]
	v_fma_f64 v[23:24], v[43:44], 2.0, -v[35:36]
	v_fma_f64 v[25:26], v[45:46], 2.0, -v[37:38]
	s_movk_i32 s0, 0x9c0
	v_and_or_b32 v5, v5, s0, v6
	v_lshl_add_u32 v5, v5, 4, 0
	v_and_b32_e32 v83, 63, v0
	ds_write_b128 v15, v[27:30] offset:256
	ds_write_b128 v15, v[7:10] offset:512
	;; [unrolled: 1-line block ×3, first 2 shown]
	ds_write_b128 v5, v[1:4]
	ds_write_b128 v5, v[23:26] offset:256
	ds_write_b128 v5, v[31:34] offset:512
	;; [unrolled: 1-line block ×3, first 2 shown]
	v_mul_u32_u24_e32 v1, 9, v83
	v_lshlrev_b32_e32 v13, 4, v1
	s_waitcnt lgkmcnt(0)
	s_barrier
	global_load_dwordx4 v[23:26], v13, s[8:9] offset:960
	global_load_dwordx4 v[27:30], v13, s[8:9] offset:976
	;; [unrolled: 1-line block ×8, first 2 shown]
	ds_read_b128 v[31:34], v81
	ds_read_b128 v[51:54], v79
	global_load_dwordx4 v[13:16], v13, s[8:9] offset:1088
	ds_read_b128 v[59:62], v74 offset:6144
	ds_read_b128 v[69:72], v74 offset:10240
	;; [unrolled: 1-line block ×5, first 2 shown]
	s_mov_b32 s0, s12
	s_waitcnt vmcnt(8) lgkmcnt(6)
	v_mul_f64 v[9:10], v[33:34], v[25:26]
	v_mul_f64 v[35:36], v[31:32], v[25:26]
	s_waitcnt vmcnt(7) lgkmcnt(5)
	v_mul_f64 v[45:46], v[53:54], v[29:30]
	v_mul_f64 v[49:50], v[51:52], v[29:30]
	s_waitcnt lgkmcnt(3)
	v_mul_f64 v[63:64], v[69:70], v[29:30]
	s_waitcnt vmcnt(5) lgkmcnt(1)
	v_mul_f64 v[102:103], v[94:95], v[43:44]
	v_fma_f64 v[47:48], v[31:32], v[23:24], v[9:10]
	ds_read_b128 v[9:12], v74
	v_mul_f64 v[31:32], v[61:62], v[25:26]
	v_mul_f64 v[25:26], v[59:60], v[25:26]
	v_fma_f64 v[57:58], v[33:34], v[23:24], -v[35:36]
	v_mul_f64 v[35:36], v[71:72], v[29:30]
	v_fma_f64 v[51:52], v[51:52], v[27:28], v[45:46]
	v_fma_f64 v[49:50], v[53:54], v[27:28], -v[49:50]
	ds_read_b128 v[53:56], v74 offset:14336
	v_fma_f64 v[29:30], v[59:60], v[23:24], v[31:32]
	v_fma_f64 v[33:34], v[61:62], v[23:24], -v[25:26]
	v_fma_f64 v[23:24], v[71:72], v[27:28], -v[63:64]
	v_fma_f64 v[25:26], v[69:70], v[27:28], v[35:36]
	ds_read_b128 v[69:72], v74 offset:16384
	v_mul_f64 v[27:28], v[88:89], v[39:40]
	v_mul_f64 v[31:32], v[90:91], v[39:40]
	s_waitcnt lgkmcnt(1)
	v_mul_f64 v[35:36], v[55:56], v[39:40]
	v_mul_f64 v[39:40], v[53:54], v[39:40]
	s_waitcnt lgkmcnt(0)
	v_mul_f64 v[45:46], v[71:72], v[43:44]
	v_mul_f64 v[100:101], v[69:70], v[43:44]
	v_fma_f64 v[63:64], v[90:91], v[37:38], -v[27:28]
	v_mul_f64 v[27:28], v[92:93], v[43:44]
	v_fma_f64 v[61:62], v[88:89], v[37:38], v[31:32]
	v_fma_f64 v[35:36], v[53:54], v[37:38], v[35:36]
	v_fma_f64 v[39:40], v[55:56], v[37:38], -v[39:40]
	s_waitcnt vmcnt(4)
	v_mul_f64 v[37:38], v[98:99], v[67:68]
	v_fma_f64 v[59:60], v[69:70], v[41:42], v[45:46]
	ds_read_b128 v[43:46], v74 offset:22528
	ds_read_b128 v[88:91], v74 offset:24576
	v_fma_f64 v[31:32], v[92:93], v[41:42], v[102:103]
	v_fma_f64 v[27:28], v[94:95], v[41:42], -v[27:28]
	ds_read_b128 v[92:95], v74 offset:26624
	v_fma_f64 v[55:56], v[71:72], v[41:42], -v[100:101]
	ds_read_b128 v[100:103], v74 offset:28672
	v_mul_f64 v[41:42], v[96:97], v[67:68]
	s_waitcnt lgkmcnt(3)
	v_mul_f64 v[53:54], v[45:46], v[67:68]
	v_mul_f64 v[67:68], v[43:44], v[67:68]
	s_waitcnt vmcnt(3) lgkmcnt(2)
	v_mul_f64 v[104:105], v[90:91], v[86:87]
	v_mul_f64 v[106:107], v[88:89], v[86:87]
	s_waitcnt lgkmcnt(1)
	v_mul_f64 v[108:109], v[94:95], v[86:87]
	v_fma_f64 v[69:70], v[96:97], v[65:66], v[37:38]
	v_mul_f64 v[37:38], v[92:93], v[86:87]
	v_fma_f64 v[71:72], v[98:99], v[65:66], -v[41:42]
	v_fma_f64 v[43:44], v[43:44], v[65:66], v[53:54]
	v_fma_f64 v[45:46], v[45:46], v[65:66], -v[67:68]
	v_fma_f64 v[67:68], v[88:89], v[84:85], v[104:105]
	ds_read_b128 v[86:89], v74 offset:30720
	v_fma_f64 v[65:66], v[90:91], v[84:85], -v[106:107]
	v_fma_f64 v[41:42], v[92:93], v[84:85], v[108:109]
	v_fma_f64 v[37:38], v[94:95], v[84:85], -v[37:38]
	ds_read_b128 v[90:93], v74 offset:32768
	ds_read_b128 v[94:97], v74 offset:34816
	ds_read_b128 v[104:107], v82
	s_waitcnt vmcnt(2) lgkmcnt(4)
	v_mul_f64 v[53:54], v[102:103], v[3:4]
	v_mul_f64 v[84:85], v[100:101], v[3:4]
	s_waitcnt lgkmcnt(3)
	v_mul_f64 v[98:99], v[88:89], v[3:4]
	v_mul_f64 v[3:4], v[86:87], v[3:4]
	s_waitcnt vmcnt(1) lgkmcnt(2)
	v_mul_f64 v[110:111], v[90:91], v[7:8]
	s_waitcnt lgkmcnt(1)
	v_mul_f64 v[112:113], v[96:97], v[7:8]
	v_mul_f64 v[108:109], v[92:93], v[7:8]
	;; [unrolled: 1-line block ×3, first 2 shown]
	v_fma_f64 v[100:101], v[100:101], v[1:2], v[53:54]
	v_fma_f64 v[102:103], v[102:103], v[1:2], -v[84:85]
	v_fma_f64 v[7:8], v[86:87], v[1:2], v[98:99]
	v_fma_f64 v[53:54], v[88:89], v[1:2], -v[3:4]
	v_fma_f64 v[92:93], v[92:93], v[5:6], -v[110:111]
	v_fma_f64 v[3:4], v[94:95], v[5:6], v[112:113]
	v_add_f64 v[94:95], v[9:10], v[51:52]
	v_add_f64 v[110:111], v[47:48], v[61:62]
	ds_read_b128 v[84:87], v74 offset:36864
	v_fma_f64 v[98:99], v[90:91], v[5:6], v[108:109]
	ds_read_b128 v[88:91], v74 offset:38912
	v_fma_f64 v[1:2], v[96:97], v[5:6], -v[114:115]
	v_add_f64 v[108:109], v[11:12], v[49:50]
	s_waitcnt vmcnt(0) lgkmcnt(1)
	v_mul_f64 v[5:6], v[86:87], v[15:16]
	v_mul_f64 v[96:97], v[84:85], v[15:16]
	v_add_f64 v[94:95], v[94:95], v[59:60]
	v_add_f64 v[110:111], v[110:111], v[69:70]
	;; [unrolled: 1-line block ×3, first 2 shown]
	s_waitcnt lgkmcnt(0)
	v_mul_f64 v[114:115], v[90:91], v[15:16]
	v_mul_f64 v[15:16], v[88:89], v[15:16]
	v_add_f64 v[118:119], v[49:50], v[92:93]
	v_fma_f64 v[84:85], v[84:85], v[13:14], v[5:6]
	v_fma_f64 v[86:87], v[86:87], v[13:14], -v[96:97]
	v_add_f64 v[5:6], v[94:95], v[67:68]
	v_add_f64 v[96:97], v[110:111], v[100:101]
	;; [unrolled: 1-line block ×6, first 2 shown]
	v_add_f64 v[132:133], v[61:62], -v[84:85]
	v_add_f64 v[134:135], v[63:64], -v[86:87]
	v_add_f64 v[120:121], v[5:6], v[98:99]
	v_fma_f64 v[5:6], v[88:89], v[13:14], v[114:115]
	v_fma_f64 v[13:14], v[90:91], v[13:14], -v[15:16]
	v_fma_f64 v[15:16], v[110:111], -0.5, v[9:10]
	v_fma_f64 v[110:111], v[118:119], -0.5, v[11:12]
	v_add_f64 v[114:115], v[71:72], v[102:103]
	v_add_f64 v[118:119], v[69:70], v[100:101]
	v_add_f64 v[94:95], v[108:109], v[65:66]
	v_add_f64 v[108:109], v[112:113], v[102:103]
	v_add_f64 v[112:113], v[51:52], v[98:99]
	v_fma_f64 v[90:91], v[116:117], -0.5, v[11:12]
	v_add_f64 v[116:117], v[98:99], -v[67:68]
	v_add_f64 v[126:127], v[61:62], -v[69:70]
	v_fma_f64 v[114:115], v[114:115], -0.5, v[57:58]
	v_fma_f64 v[118:119], v[118:119], -0.5, v[47:48]
	v_add_f64 v[128:129], v[84:85], -v[100:101]
	v_add_f64 v[130:131], v[63:64], -v[71:72]
	v_fma_f64 v[88:89], v[112:113], -0.5, v[9:10]
	v_add_f64 v[112:113], v[51:52], -v[59:60]
	v_add_f64 v[136:137], v[86:87], -v[102:103]
	;; [unrolled: 1-line block ×3, first 2 shown]
	v_fma_f64 v[138:139], v[132:133], s[0:1], v[114:115]
	v_fma_f64 v[142:143], v[134:135], s[12:13], v[118:119]
	v_add_f64 v[144:145], v[71:72], -v[102:103]
	v_add_f64 v[122:123], v[49:50], -v[55:56]
	;; [unrolled: 1-line block ×3, first 2 shown]
	v_add_f64 v[126:127], v[126:127], v[128:129]
	v_add_f64 v[130:131], v[130:131], v[136:137]
	;; [unrolled: 1-line block ×3, first 2 shown]
	v_fma_f64 v[136:137], v[140:141], s[4:5], v[138:139]
	v_add_f64 v[138:139], v[49:50], -v[92:93]
	v_fma_f64 v[128:129], v[144:145], s[6:7], v[142:143]
	v_add_f64 v[116:117], v[51:52], -v[98:99]
	v_add_f64 v[142:143], v[63:64], v[86:87]
	v_add_f64 v[122:123], v[122:123], v[124:125]
	v_add_f64 v[146:147], v[55:56], -v[65:66]
	v_add_f64 v[150:151], v[59:60], -v[67:68]
	v_fma_f64 v[136:137], v[130:131], s[10:11], v[136:137]
	v_add_f64 v[154:155], v[61:62], v[84:85]
	v_fma_f64 v[124:125], v[126:127], s[10:11], v[128:129]
	v_fma_f64 v[128:129], v[138:139], s[12:13], v[15:16]
	;; [unrolled: 1-line block ×3, first 2 shown]
	v_fma_f64 v[57:58], v[142:143], -0.5, v[57:58]
	v_add_f64 v[108:109], v[108:109], v[86:87]
	v_add_f64 v[63:64], v[71:72], -v[63:64]
	v_mul_f64 v[152:153], v[136:137], s[6:7]
	v_mul_f64 v[136:137], v[136:137], s[18:19]
	v_add_f64 v[71:72], v[102:103], -v[86:87]
	v_fma_f64 v[128:129], v[146:147], s[6:7], v[128:129]
	v_fma_f64 v[142:143], v[150:151], s[4:5], v[148:149]
	v_fma_f64 v[47:48], v[154:155], -0.5, v[47:48]
	v_fma_f64 v[86:87], v[140:141], s[12:13], v[57:58]
	v_add_f64 v[94:95], v[94:95], v[92:93]
	v_add_f64 v[96:97], v[96:97], v[84:85]
	v_fma_f64 v[148:149], v[124:125], s[18:19], v[152:153]
	v_fma_f64 v[102:103], v[124:125], s[4:5], v[136:137]
	;; [unrolled: 1-line block ×4, first 2 shown]
	v_add_f64 v[136:137], v[69:70], -v[61:62]
	v_add_f64 v[100:101], v[100:101], -v[84:85]
	v_add_f64 v[142:143], v[63:64], v[71:72]
	v_fma_f64 v[152:153], v[144:145], s[0:1], v[47:48]
	v_fma_f64 v[86:87], v[132:133], s[4:5], v[86:87]
	v_add_f64 v[9:10], v[120:121], v[96:97]
	v_add_f64 v[11:12], v[94:95], v[108:109]
	v_add_f64 v[61:62], v[120:121], -v[96:97]
	v_add_f64 v[63:64], v[94:95], -v[108:109]
	v_add_f64 v[94:95], v[136:137], v[100:101]
	v_add_f64 v[51:52], v[59:60], -v[51:52]
	v_fma_f64 v[96:97], v[134:135], s[6:7], v[152:153]
	v_fma_f64 v[100:101], v[142:143], s[10:11], v[86:87]
	v_add_f64 v[59:60], v[67:68], -v[98:99]
	v_add_f64 v[49:50], v[55:56], -v[49:50]
	v_add_f64 v[55:56], v[65:66], -v[92:93]
	v_fma_f64 v[47:48], v[144:145], s[12:13], v[47:48]
	v_fma_f64 v[57:58], v[140:141], s[0:1], v[57:58]
	;; [unrolled: 1-line block ×4, first 2 shown]
	v_mul_f64 v[67:68], v[100:101], s[12:13]
	v_mul_f64 v[92:93], v[100:101], s[10:11]
	v_add_f64 v[51:52], v[51:52], v[59:60]
	v_fma_f64 v[96:97], v[146:147], s[0:1], v[88:89]
	v_fma_f64 v[47:48], v[134:135], s[4:5], v[47:48]
	;; [unrolled: 1-line block ×3, first 2 shown]
	v_add_f64 v[55:56], v[49:50], v[55:56]
	v_fma_f64 v[88:89], v[146:147], s[12:13], v[88:89]
	v_fma_f64 v[59:60], v[65:66], s[10:11], v[67:68]
	;; [unrolled: 1-line block ×12, first 2 shown]
	v_add_f64 v[71:72], v[128:129], v[102:103]
	v_add_f64 v[86:87], v[128:129], -v[102:103]
	v_fma_f64 v[100:101], v[144:145], s[4:5], v[47:48]
	v_fma_f64 v[88:89], v[138:139], s[4:5], v[88:89]
	v_fma_f64 v[96:97], v[116:117], s[6:7], v[96:97]
	v_mul_f64 v[102:103], v[57:58], s[12:13]
	v_mul_f64 v[57:58], v[57:58], s[14:15]
	v_fma_f64 v[92:93], v[130:131], s[10:11], v[92:93]
	v_fma_f64 v[90:91], v[116:117], s[12:13], v[90:91]
	;; [unrolled: 1-line block ×8, first 2 shown]
	v_mul_f64 v[108:109], v[92:93], s[6:7]
	v_fma_f64 v[88:89], v[94:95], s[14:15], v[102:103]
	v_fma_f64 v[94:95], v[94:95], s[0:1], v[57:58]
	;; [unrolled: 1-line block ×3, first 2 shown]
	v_mul_f64 v[92:93], v[92:93], s[16:17]
	v_fma_f64 v[15:16], v[112:113], s[10:11], v[15:16]
	v_add_f64 v[69:70], v[124:125], v[148:149]
	v_add_f64 v[47:48], v[98:99], v[59:60]
	v_fma_f64 v[108:109], v[100:101], s[16:17], v[108:109]
	v_add_f64 v[49:50], v[67:68], v[65:66]
	v_add_f64 v[57:58], v[67:68], -v[65:66]
	v_add_f64 v[65:66], v[51:52], v[88:89]
	v_add_f64 v[67:68], v[96:97], v[94:95]
	v_fma_f64 v[102:103], v[122:123], s[10:11], v[90:91]
	v_fma_f64 v[100:101], v[100:101], s[4:5], v[92:93]
	v_add_f64 v[90:91], v[96:97], -v[94:95]
	v_add_f64 v[92:93], v[15:16], v[108:109]
	v_add_f64 v[96:97], v[15:16], -v[108:109]
	v_lshrrev_b32_e32 v15, 6, v0
	v_mul_u32_u24_e32 v15, 0x280, v15
	v_or_b32_e32 v15, v15, v83
	v_add_f64 v[88:89], v[51:52], -v[88:89]
	v_lshl_add_u32 v51, v15, 4, 0
	s_barrier
	ds_write_b128 v51, v[9:12]
	ds_write_b128 v51, v[69:72] offset:1024
	ds_write_b128 v51, v[47:50] offset:2048
	;; [unrolled: 1-line block ×3, first 2 shown]
	v_add_f64 v[47:48], v[33:34], v[39:40]
	v_add_f64 v[9:10], v[104:105], v[25:26]
	v_add_f64 v[15:16], v[29:30], v[35:36]
	v_add_f64 v[94:95], v[102:103], v[100:101]
	v_add_f64 v[84:85], v[124:125], -v[148:149]
	v_add_f64 v[55:56], v[98:99], -v[59:60]
	ds_write_b128 v51, v[92:95] offset:4096
	ds_write_b128 v51, v[61:64] offset:5120
	;; [unrolled: 1-line block ×3, first 2 shown]
	v_add_f64 v[47:48], v[47:48], v[45:46]
	v_add_f64 v[9:10], v[9:10], v[31:32]
	v_add_f64 v[15:16], v[15:16], v[43:44]
	v_add_f64 v[86:87], v[39:40], -v[13:14]
	v_add_f64 v[98:99], v[102:103], -v[100:101]
	v_add_f64 v[11:12], v[106:107], v[23:24]
	v_add_f64 v[49:50], v[31:32], v[41:42]
	ds_write_b128 v51, v[55:58] offset:7168
	ds_write_b128 v51, v[88:91] offset:8192
	;; [unrolled: 1-line block ×3, first 2 shown]
	v_add_f64 v[47:48], v[47:48], v[53:54]
	v_add_f64 v[9:10], v[9:10], v[41:42]
	;; [unrolled: 1-line block ×4, first 2 shown]
	v_add_f64 v[92:93], v[5:6], -v[7:8]
	v_add_f64 v[96:97], v[45:46], -v[53:54]
	;; [unrolled: 1-line block ×3, first 2 shown]
	v_add_f64 v[11:12], v[11:12], v[27:28]
	v_add_f64 v[65:66], v[47:48], v[13:14]
	;; [unrolled: 1-line block ×5, first 2 shown]
	v_fma_f64 v[51:52], v[49:50], -0.5, v[104:105]
	v_add_f64 v[49:50], v[25:26], v[3:4]
	v_add_f64 v[55:56], v[27:28], v[37:38]
	;; [unrolled: 1-line block ×3, first 2 shown]
	v_fma_f64 v[59:60], v[59:60], -0.5, v[33:34]
	v_fma_f64 v[84:85], v[47:48], -0.5, v[29:30]
	v_add_f64 v[69:70], v[35:36], -v[5:6]
	v_add_f64 v[9:10], v[61:62], v[15:16]
	v_add_f64 v[47:48], v[61:62], -v[15:16]
	v_add_f64 v[15:16], v[25:26], -v[31:32]
	;; [unrolled: 1-line block ×3, first 2 shown]
	v_add_f64 v[11:12], v[11:12], v[37:38]
	v_fma_f64 v[67:68], v[49:50], -0.5, v[104:105]
	v_fma_f64 v[94:95], v[86:87], s[12:13], v[84:85]
	v_fma_f64 v[55:56], v[55:56], -0.5, v[106:107]
	v_fma_f64 v[57:58], v[57:58], -0.5, v[106:107]
	v_add_f64 v[49:50], v[39:40], -v[45:46]
	v_add_f64 v[71:72], v[13:14], -v[53:54]
	v_add_f64 v[61:62], v[61:62], v[92:93]
	v_fma_f64 v[88:89], v[69:70], s[0:1], v[59:60]
	v_add_f64 v[90:91], v[43:44], -v[7:8]
	v_fma_f64 v[92:93], v[96:97], s[6:7], v[94:95]
	v_add_f64 v[94:95], v[15:16], v[98:99]
	v_add_f64 v[15:16], v[39:40], v[13:14]
	;; [unrolled: 1-line block ×5, first 2 shown]
	v_add_f64 v[98:99], v[25:26], -v[3:4]
	v_fma_f64 v[88:89], v[90:91], s[4:5], v[88:89]
	v_add_f64 v[39:40], v[45:46], -v[39:40]
	v_add_f64 v[13:14], v[53:54], -v[13:14]
	v_fma_f64 v[15:16], v[15:16], -0.5, v[33:34]
	v_fma_f64 v[29:30], v[106:107], -0.5, v[29:30]
	v_add_f64 v[11:12], v[63:64], v[65:66]
	v_add_f64 v[49:50], v[63:64], -v[65:66]
	v_add_f64 v[63:64], v[23:24], -v[27:28]
	;; [unrolled: 1-line block ×4, first 2 shown]
	v_fma_f64 v[88:89], v[71:72], s[10:11], v[88:89]
	v_fma_f64 v[45:46], v[90:91], s[12:13], v[15:16]
	v_add_f64 v[104:105], v[27:28], -v[37:38]
	v_fma_f64 v[33:34], v[98:99], s[0:1], v[55:56]
	v_add_f64 v[108:109], v[31:32], -v[41:42]
	v_add_f64 v[35:36], v[43:44], -v[35:36]
	v_add_f64 v[7:8], v[7:8], -v[5:6]
	v_add_f64 v[39:40], v[39:40], v[13:14]
	v_fma_f64 v[13:14], v[96:97], s[0:1], v[29:30]
	v_fma_f64 v[43:44], v[69:70], s[4:5], v[45:46]
	;; [unrolled: 1-line block ×3, first 2 shown]
	v_add_f64 v[63:64], v[63:64], v[100:101]
	v_fma_f64 v[92:93], v[61:62], s[10:11], v[92:93]
	v_mul_f64 v[100:101], v[88:89], s[6:7]
	v_mul_f64 v[88:89], v[88:89], s[18:19]
	v_fma_f64 v[33:34], v[108:109], s[4:5], v[33:34]
	v_add_f64 v[25:26], v[31:32], -v[25:26]
	v_add_f64 v[3:4], v[41:42], -v[3:4]
	v_add_f64 v[31:32], v[35:36], v[7:8]
	v_fma_f64 v[13:14], v[86:87], s[6:7], v[13:14]
	v_fma_f64 v[35:36], v[39:40], s[10:11], v[43:44]
	;; [unrolled: 1-line block ×6, first 2 shown]
	v_add_f64 v[23:24], v[27:28], -v[23:24]
	v_add_f64 v[27:28], v[37:38], -v[1:2]
	v_add_f64 v[25:26], v[25:26], v[3:4]
	v_fma_f64 v[3:4], v[108:109], s[12:13], v[57:58]
	v_fma_f64 v[13:14], v[31:32], s[10:11], v[13:14]
	v_mul_f64 v[37:38], v[35:36], s[12:13]
	v_fma_f64 v[41:42], v[65:66], s[6:7], v[41:42]
	v_fma_f64 v[15:16], v[90:91], s[0:1], v[15:16]
	;; [unrolled: 1-line block ×4, first 2 shown]
	v_add_f64 v[7:8], v[33:34], v[45:46]
	v_add_f64 v[23:24], v[23:24], v[27:28]
	v_fma_f64 v[27:28], v[98:99], s[4:5], v[3:4]
	v_add_f64 v[3:4], v[33:34], -v[45:46]
	v_fma_f64 v[33:34], v[13:14], s[10:11], v[37:38]
	v_fma_f64 v[37:38], v[25:26], s[10:11], v[41:42]
	;; [unrolled: 1-line block ×6, first 2 shown]
	v_add_f64 v[5:6], v[100:101], v[53:54]
	v_add_f64 v[1:2], v[100:101], -v[53:54]
	v_fma_f64 v[53:54], v[86:87], s[0:1], v[84:85]
	v_fma_f64 v[45:46], v[108:109], s[0:1], v[57:58]
	;; [unrolled: 1-line block ×9, first 2 shown]
	v_mul_f64 v[35:36], v[35:36], s[10:11]
	v_fma_f64 v[41:42], v[71:72], s[10:11], v[41:42]
	v_fma_f64 v[29:30], v[31:32], s[10:11], v[29:30]
	v_mul_f64 v[31:32], v[39:40], s[12:13]
	v_fma_f64 v[45:46], v[98:99], s[6:7], v[45:46]
	v_fma_f64 v[43:44], v[25:26], s[10:11], v[43:44]
	;; [unrolled: 3-line block ×3, first 2 shown]
	v_mul_f64 v[53:54], v[41:42], s[6:7]
	v_fma_f64 v[55:56], v[108:109], s[6:7], v[55:56]
	v_mul_f64 v[41:42], v[41:42], s[16:17]
	v_fma_f64 v[35:36], v[13:14], s[0:1], v[35:36]
	v_fma_f64 v[27:28], v[23:24], s[10:11], v[27:28]
	;; [unrolled: 1-line block ×9, first 2 shown]
	v_add_f64 v[13:14], v[37:38], v[33:34]
	v_add_f64 v[23:24], v[37:38], -v[33:34]
	s_movk_i32 s0, 0x280
	v_lshrrev_b32_e32 v37, 6, v22
	v_add_f64 v[15:16], v[27:28], v[35:36]
	v_add_f64 v[25:26], v[27:28], -v[35:36]
	v_add_f64 v[27:28], v[43:44], v[31:32]
	v_add_f64 v[31:32], v[43:44], -v[31:32]
	v_mul_lo_u32 v43, v37, s0
	v_add_f64 v[29:30], v[45:46], v[57:58]
	v_add_f64 v[35:36], v[39:40], v[53:54]
	;; [unrolled: 1-line block ×3, first 2 shown]
	v_or_b32_e32 v43, v43, v83
	v_lshl_add_u32 v43, v43, 4, 0
	v_add_f64 v[33:34], v[45:46], -v[57:58]
	v_add_f64 v[39:40], v[39:40], -v[53:54]
	;; [unrolled: 1-line block ×3, first 2 shown]
	ds_write_b128 v43, v[9:12]
	ds_write_b128 v43, v[5:8] offset:1024
	ds_write_b128 v43, v[13:16] offset:2048
	;; [unrolled: 1-line block ×9, first 2 shown]
	v_mul_u32_u24_e32 v1, 3, v0
	v_lshlrev_b32_e32 v1, 4, v1
	v_mov_b32_e32 v59, s9
	v_add_co_u32_e64 v7, s[0:1], s8, v1
	v_addc_co_u32_e64 v8, s[0:1], 0, v59, s[0:1]
	s_movk_i32 s5, 0x2000
	v_mov_b32_e32 v56, 0
	v_mul_i32_i24_e32 v55, 3, v22
	v_add_co_u32_e64 v1, s[0:1], s5, v7
	v_lshlrev_b64 v[5:6], 4, v[55:56]
	v_addc_co_u32_e64 v2, s[0:1], 0, v8, s[0:1]
	s_waitcnt lgkmcnt(0)
	s_barrier
	global_load_dwordx4 v[1:4], v[1:2], off offset:1984
	v_add_co_u32_e64 v25, s[0:1], s8, v5
	s_movk_i32 s4, 0x27c0
	v_addc_co_u32_e64 v26, s[0:1], v59, v6, s[0:1]
	v_add_co_u32_e64 v23, s[0:1], s4, v7
	v_addc_co_u32_e64 v24, s[0:1], 0, v8, s[0:1]
	global_load_dwordx4 v[5:8], v[23:24], off offset:16
	v_add_co_u32_e64 v31, s[0:1], s4, v25
	v_addc_co_u32_e64 v32, s[0:1], 0, v26, s[0:1]
	global_load_dwordx4 v[9:12], v[23:24], off offset:32
	global_load_dwordx4 v[13:16], v[31:32], off offset:16
	v_add_co_u32_e64 v33, s[0:1], s5, v25
	v_addc_co_u32_e64 v34, s[0:1], 0, v26, s[0:1]
	global_load_dwordx4 v[23:26], v[33:34], off offset:1984
	global_load_dwordx4 v[27:30], v[31:32], off offset:32
	v_mul_i32_i24_e32 v55, 3, v21
	v_lshlrev_b64 v[31:32], 4, v[55:56]
	v_mul_i32_i24_e32 v55, 3, v20
	v_add_co_u32_e64 v35, s[0:1], s8, v31
	v_addc_co_u32_e64 v36, s[0:1], v59, v32, s[0:1]
	v_add_co_u32_e64 v31, s[0:1], s5, v35
	v_addc_co_u32_e64 v32, s[0:1], 0, v36, s[0:1]
	global_load_dwordx4 v[31:34], v[31:32], off offset:1984
	v_lshlrev_b64 v[39:40], 4, v[55:56]
	v_add_co_u32_e64 v41, s[0:1], s4, v35
	v_addc_co_u32_e64 v42, s[0:1], 0, v36, s[0:1]
	global_load_dwordx4 v[35:38], v[41:42], off offset:16
	v_add_co_u32_e64 v47, s[0:1], s8, v39
	v_addc_co_u32_e64 v48, s[0:1], v59, v40, s[0:1]
	global_load_dwordx4 v[39:42], v[41:42], off offset:32
	v_add_co_u32_e64 v43, s[0:1], s5, v47
	v_addc_co_u32_e64 v44, s[0:1], 0, v48, s[0:1]
	global_load_dwordx4 v[43:46], v[43:44], off offset:1984
	v_add_co_u32_e64 v57, s[0:1], s4, v47
	v_addc_co_u32_e64 v58, s[0:1], 0, v48, s[0:1]
	global_load_dwordx4 v[47:50], v[57:58], off offset:16
	global_load_dwordx4 v[51:54], v[57:58], off offset:32
	v_mul_i32_i24_e32 v55, 3, v19
	v_lshlrev_b64 v[55:56], 4, v[55:56]
	v_add_co_u32_e64 v60, s[0:1], s8, v55
	v_addc_co_u32_e64 v59, s[0:1], v59, v56, s[0:1]
	v_add_co_u32_e64 v55, s[0:1], s5, v60
	v_addc_co_u32_e64 v56, s[0:1], 0, v59, s[0:1]
	;; [unrolled: 2-line block ×3, first 2 shown]
	global_load_dwordx4 v[55:58], v[55:56], off offset:1984
	s_nop 0
	global_load_dwordx4 v[59:62], v[67:68], off offset:16
	global_load_dwordx4 v[63:66], v[67:68], off offset:32
	ds_read_b128 v[67:70], v74 offset:10240
	ds_read_b128 v[83:86], v74
	ds_read_b128 v[87:90], v74 offset:20480
	ds_read_b128 v[91:94], v74 offset:22528
	;; [unrolled: 1-line block ×5, first 2 shown]
	s_add_u32 s4, s8, 0x9fc0
	s_addc_u32 s5, s9, 0
	v_cmp_ne_u32_e64 s[0:1], 0, v0
	s_waitcnt vmcnt(14) lgkmcnt(6)
	v_mul_f64 v[71:72], v[69:70], v[3:4]
	v_mul_f64 v[3:4], v[67:68], v[3:4]
	v_fma_f64 v[67:68], v[67:68], v[1:2], v[71:72]
	v_fma_f64 v[69:70], v[69:70], v[1:2], -v[3:4]
	ds_read_b128 v[1:4], v74 offset:14336
	s_waitcnt vmcnt(13) lgkmcnt(5)
	v_mul_f64 v[107:108], v[89:90], v[7:8]
	v_mul_f64 v[7:8], v[87:88], v[7:8]
	s_waitcnt vmcnt(12) lgkmcnt(3)
	v_mul_f64 v[71:72], v[97:98], v[11:12]
	v_mul_f64 v[11:12], v[95:96], v[11:12]
	v_fma_f64 v[87:88], v[87:88], v[5:6], v[107:108]
	s_waitcnt vmcnt(10) lgkmcnt(2)
	v_mul_f64 v[107:108], v[105:106], v[25:26]
	v_fma_f64 v[89:90], v[89:90], v[5:6], -v[7:8]
	v_fma_f64 v[71:72], v[95:96], v[9:10], v[71:72]
	v_fma_f64 v[95:96], v[97:98], v[9:10], -v[11:12]
	ds_read_b128 v[5:8], v74 offset:32768
	ds_read_b128 v[9:12], v74 offset:34816
	v_mul_f64 v[97:98], v[93:94], v[15:16]
	v_mul_f64 v[15:16], v[91:92], v[15:16]
	;; [unrolled: 1-line block ×3, first 2 shown]
	v_fma_f64 v[103:104], v[103:104], v[23:24], v[107:108]
	s_waitcnt vmcnt(9) lgkmcnt(1)
	v_mul_f64 v[107:108], v[7:8], v[29:30]
	v_mul_f64 v[29:30], v[5:6], v[29:30]
	s_waitcnt vmcnt(8)
	v_mul_f64 v[109:110], v[3:4], v[33:34]
	v_mul_f64 v[33:34], v[1:2], v[33:34]
	v_fma_f64 v[91:92], v[91:92], v[13:14], v[97:98]
	v_fma_f64 v[93:94], v[93:94], v[13:14], -v[15:16]
	ds_read_b128 v[13:16], v74 offset:24576
	v_fma_f64 v[105:106], v[105:106], v[23:24], -v[25:26]
	v_fma_f64 v[97:98], v[5:6], v[27:28], v[107:108]
	v_fma_f64 v[107:108], v[7:8], v[27:28], -v[29:30]
	ds_read_b128 v[5:8], v74 offset:26624
	v_fma_f64 v[109:110], v[1:2], v[31:32], v[109:110]
	s_waitcnt vmcnt(7) lgkmcnt(1)
	v_mul_f64 v[27:28], v[15:16], v[37:38]
	v_mul_f64 v[29:30], v[13:14], v[37:38]
	ds_read_b128 v[23:26], v74 offset:16384
	s_waitcnt vmcnt(6)
	v_mul_f64 v[37:38], v[11:12], v[41:42]
	v_fma_f64 v[111:112], v[3:4], v[31:32], -v[33:34]
	ds_read_b128 v[1:4], v74 offset:18432
	v_mul_f64 v[31:32], v[9:10], v[41:42]
	s_waitcnt vmcnt(5) lgkmcnt(1)
	v_mul_f64 v[33:34], v[25:26], v[45:46]
	v_mul_f64 v[41:42], v[23:24], v[45:46]
	v_fma_f64 v[45:46], v[13:14], v[35:36], v[27:28]
	v_fma_f64 v[113:114], v[15:16], v[35:36], -v[29:30]
	v_fma_f64 v[115:116], v[9:10], v[39:40], v[37:38]
	s_waitcnt vmcnt(4)
	v_mul_f64 v[27:28], v[7:8], v[49:50]
	ds_read_b128 v[13:16], v74 offset:38912
	v_fma_f64 v[39:40], v[11:12], v[39:40], -v[31:32]
	ds_read_b128 v[9:12], v74 offset:36864
	v_fma_f64 v[117:118], v[23:24], v[43:44], v[33:34]
	v_fma_f64 v[41:42], v[25:26], v[43:44], -v[41:42]
	v_mul_f64 v[23:24], v[5:6], v[49:50]
	v_add_f64 v[35:36], v[83:84], -v[87:88]
	s_waitcnt vmcnt(3) lgkmcnt(0)
	v_mul_f64 v[25:26], v[11:12], v[53:54]
	v_mul_f64 v[29:30], v[9:10], v[53:54]
	v_add_f64 v[37:38], v[85:86], -v[89:90]
	v_add_f64 v[31:32], v[67:68], -v[71:72]
	;; [unrolled: 1-line block ×3, first 2 shown]
	v_fma_f64 v[43:44], v[5:6], v[47:48], v[27:28]
	v_fma_f64 v[47:48], v[7:8], v[47:48], -v[23:24]
	s_waitcnt vmcnt(2)
	v_mul_f64 v[23:24], v[3:4], v[57:58]
	v_fma_f64 v[49:50], v[9:10], v[51:52], v[25:26]
	v_fma_f64 v[51:52], v[11:12], v[51:52], -v[29:30]
	v_fma_f64 v[9:10], v[83:84], 2.0, -v[35:36]
	v_fma_f64 v[11:12], v[85:86], 2.0, -v[37:38]
	v_fma_f64 v[5:6], v[67:68], 2.0, -v[31:32]
	v_fma_f64 v[7:8], v[69:70], 2.0, -v[33:34]
	v_mul_f64 v[25:26], v[1:2], v[57:58]
	s_waitcnt vmcnt(0)
	v_mul_f64 v[53:54], v[15:16], v[65:66]
	v_mul_f64 v[57:58], v[13:14], v[65:66]
	;; [unrolled: 1-line block ×4, first 2 shown]
	v_fma_f64 v[61:62], v[1:2], v[55:56], v[23:24]
	v_add_f64 v[5:6], v[9:10], -v[5:6]
	v_add_f64 v[7:8], v[11:12], -v[7:8]
	v_fma_f64 v[55:56], v[3:4], v[55:56], -v[25:26]
	v_fma_f64 v[53:54], v[13:14], v[63:64], v[53:54]
	v_fma_f64 v[57:58], v[15:16], v[63:64], -v[57:58]
	v_add_f64 v[69:70], v[103:104], -v[97:98]
	v_add_f64 v[71:72], v[105:106], -v[107:108]
	v_add_f64 v[23:24], v[35:36], v[33:34]
	v_fma_f64 v[1:2], v[9:10], 2.0, -v[5:6]
	v_fma_f64 v[3:4], v[11:12], 2.0, -v[7:8]
	ds_read_b128 v[9:12], v82
	ds_read_b128 v[13:16], v81
	v_add_f64 v[25:26], v[37:38], -v[31:32]
	v_fma_f64 v[65:66], v[99:100], v[59:60], v[27:28]
	v_fma_f64 v[59:60], v[101:102], v[59:60], -v[29:30]
	s_waitcnt lgkmcnt(1)
	v_add_f64 v[63:64], v[9:10], -v[91:92]
	v_add_f64 v[67:68], v[11:12], -v[93:94]
	v_fma_f64 v[35:36], v[35:36], 2.0, -v[23:24]
	ds_read_b128 v[27:30], v80
	ds_read_b128 v[31:34], v79
	s_waitcnt lgkmcnt(0)
	v_fma_f64 v[37:38], v[37:38], 2.0, -v[25:26]
	s_barrier
	v_fma_f64 v[83:84], v[9:10], 2.0, -v[63:64]
	v_fma_f64 v[85:86], v[11:12], 2.0, -v[67:68]
	v_fma_f64 v[9:10], v[103:104], 2.0, -v[69:70]
	v_fma_f64 v[11:12], v[105:106], 2.0, -v[71:72]
	ds_write_b128 v74, v[1:4]
	ds_write_b128 v74, v[35:38] offset:10240
	v_add_f64 v[45:46], v[13:14], -v[45:46]
	v_add_f64 v[87:88], v[15:16], -v[113:114]
	;; [unrolled: 1-line block ×4, first 2 shown]
	ds_write_b128 v74, v[5:8] offset:20480
	ds_write_b128 v74, v[23:26] offset:30720
	v_add_f64 v[1:2], v[83:84], -v[9:10]
	v_add_f64 v[3:4], v[85:86], -v[11:12]
	v_add_f64 v[9:10], v[63:64], v[71:72]
	v_add_f64 v[11:12], v[67:68], -v[69:70]
	v_fma_f64 v[69:70], v[13:14], 2.0, -v[45:46]
	v_fma_f64 v[71:72], v[15:16], 2.0, -v[87:88]
	;; [unrolled: 1-line block ×8, first 2 shown]
	v_add_f64 v[23:24], v[45:46], v[39:40]
	ds_write_b128 v82, v[13:16]
	ds_write_b128 v82, v[35:38] offset:10240
	ds_write_b128 v82, v[1:4] offset:20480
	;; [unrolled: 1-line block ×3, first 2 shown]
	v_add_f64 v[5:6], v[69:70], -v[91:92]
	v_add_f64 v[7:8], v[71:72], -v[93:94]
	;; [unrolled: 1-line block ×7, first 2 shown]
	v_fma_f64 v[9:10], v[45:46], 2.0, -v[23:24]
	v_add_f64 v[43:44], v[31:32], -v[65:66]
	v_add_f64 v[45:46], v[33:34], -v[59:60]
	;; [unrolled: 1-line block ×4, first 2 shown]
	v_fma_f64 v[1:2], v[69:70], 2.0, -v[5:6]
	v_fma_f64 v[3:4], v[71:72], 2.0, -v[7:8]
	v_fma_f64 v[49:50], v[27:28], 2.0, -v[35:36]
	v_fma_f64 v[51:52], v[29:30], 2.0, -v[37:38]
	v_fma_f64 v[27:28], v[117:118], 2.0, -v[13:14]
	v_fma_f64 v[29:30], v[41:42], 2.0, -v[15:16]
	v_fma_f64 v[11:12], v[87:88], 2.0, -v[25:26]
	v_fma_f64 v[41:42], v[31:32], 2.0, -v[43:44]
	v_fma_f64 v[53:54], v[33:34], 2.0, -v[45:46]
	v_fma_f64 v[31:32], v[61:62], 2.0, -v[39:40]
	v_fma_f64 v[33:34], v[55:56], 2.0, -v[47:48]
	ds_write_b128 v81, v[1:4]
	ds_write_b128 v81, v[9:12] offset:10240
	v_add_f64 v[1:2], v[49:50], -v[27:28]
	v_add_f64 v[3:4], v[51:52], -v[29:30]
	v_add_f64 v[9:10], v[35:36], v[15:16]
	v_add_f64 v[11:12], v[37:38], -v[13:14]
	v_add_f64 v[13:14], v[41:42], -v[31:32]
	;; [unrolled: 1-line block ×3, first 2 shown]
	v_add_f64 v[27:28], v[43:44], v[47:48]
	v_add_f64 v[29:30], v[45:46], -v[39:40]
	v_fma_f64 v[31:32], v[49:50], 2.0, -v[1:2]
	v_fma_f64 v[33:34], v[51:52], 2.0, -v[3:4]
	;; [unrolled: 1-line block ×8, first 2 shown]
	ds_write_b128 v81, v[5:8] offset:20480
	ds_write_b128 v81, v[23:26] offset:30720
	ds_write_b128 v80, v[31:34]
	ds_write_b128 v80, v[35:38] offset:10240
	ds_write_b128 v80, v[1:4] offset:20480
	;; [unrolled: 1-line block ×3, first 2 shown]
	ds_write_b128 v79, v[39:42]
	ds_write_b128 v79, v[43:46] offset:10240
	ds_write_b128 v79, v[13:16] offset:20480
	ds_write_b128 v79, v[27:30] offset:30720
	s_waitcnt lgkmcnt(0)
	s_barrier
	ds_read_b128 v[5:8], v74
	v_sub_u32_e32 v13, 0, v73
                                        ; implicit-def: $vgpr1_vgpr2
                                        ; implicit-def: $vgpr9_vgpr10
                                        ; implicit-def: $vgpr11_vgpr12
	s_and_saveexec_b64 s[6:7], s[0:1]
	s_xor_b64 s[0:1], exec, s[6:7]
	s_cbranch_execz .LBB0_15
; %bb.14:
	global_load_dwordx4 v[23:26], v73, s[4:5]
	ds_read_b128 v[1:4], v13 offset:40960
	s_waitcnt lgkmcnt(0)
	v_add_f64 v[9:10], v[5:6], -v[1:2]
	v_add_f64 v[11:12], v[7:8], v[3:4]
	v_add_f64 v[3:4], v[7:8], -v[3:4]
	v_add_f64 v[1:2], v[5:6], v[1:2]
	v_mul_f64 v[7:8], v[9:10], 0.5
	v_mul_f64 v[5:6], v[11:12], 0.5
	;; [unrolled: 1-line block ×3, first 2 shown]
	s_waitcnt vmcnt(0)
	v_mul_f64 v[9:10], v[7:8], v[25:26]
	v_fma_f64 v[11:12], v[5:6], v[25:26], v[3:4]
	v_fma_f64 v[3:4], v[5:6], v[25:26], -v[3:4]
	v_fma_f64 v[14:15], v[1:2], 0.5, v[9:10]
	v_fma_f64 v[1:2], v[1:2], 0.5, -v[9:10]
	v_fma_f64 v[11:12], -v[23:24], v[7:8], v[11:12]
	v_fma_f64 v[3:4], -v[23:24], v[7:8], v[3:4]
	v_fma_f64 v[9:10], v[5:6], v[23:24], v[14:15]
	v_fma_f64 v[1:2], -v[5:6], v[23:24], v[1:2]
                                        ; implicit-def: $vgpr5_vgpr6
.LBB0_15:
	s_or_saveexec_b64 s[0:1], s[0:1]
	v_mul_i32_i24_e32 v24, 0xffffffd0, v22
	v_mul_i32_i24_e32 v16, 0xffffffd0, v21
	;; [unrolled: 1-line block ×4, first 2 shown]
	s_xor_b64 exec, exec, s[0:1]
	s_cbranch_execz .LBB0_17
; %bb.16:
	s_waitcnt lgkmcnt(0)
	v_add_f64 v[9:10], v[5:6], v[7:8]
	v_add_f64 v[1:2], v[5:6], -v[7:8]
	v_mov_b32_e32 v5, 0
	ds_read_b64 v[3:4], v5 offset:20488
	v_mov_b32_e32 v11, 0
	v_mov_b32_e32 v12, 0
	s_waitcnt lgkmcnt(0)
	v_xor_b32_e32 v4, 0x80000000, v4
	ds_write_b64 v5, v[3:4] offset:20488
	v_mov_b32_e32 v3, v11
	v_mov_b32_e32 v4, v12
.LBB0_17:
	s_or_b64 exec, exec, s[0:1]
	v_mov_b32_e32 v23, 0
	s_waitcnt lgkmcnt(0)
	v_lshlrev_b64 v[5:6], 4, v[22:23]
	v_mov_b32_e32 v7, s5
	v_add_co_u32_e64 v5, s[0:1], s4, v5
	v_addc_co_u32_e64 v6, s[0:1], v7, v6, s[0:1]
	global_load_dwordx4 v[5:8], v[5:6], off
	v_mov_b32_e32 v22, v23
	v_lshlrev_b64 v[21:22], 4, v[21:22]
	v_mov_b32_e32 v25, s5
	v_add_co_u32_e64 v21, s[0:1], s4, v21
	v_addc_co_u32_e64 v22, s[0:1], v25, v22, s[0:1]
	global_load_dwordx4 v[25:28], v[21:22], off
	ds_write2_b64 v74, v[9:10], v[11:12] offset1:1
	ds_write_b128 v13, v[1:4] offset:40960
	v_add_u32_e32 v24, v78, v24
	ds_read_b128 v[1:4], v24
	ds_read_b128 v[9:12], v13 offset:38912
	v_add_u32_e32 v16, v77, v16
	s_waitcnt lgkmcnt(0)
	v_add_f64 v[21:22], v[1:2], -v[9:10]
	v_add_f64 v[29:30], v[3:4], v[11:12]
	v_add_f64 v[3:4], v[3:4], -v[11:12]
	v_add_f64 v[1:2], v[1:2], v[9:10]
	v_mul_f64 v[11:12], v[21:22], 0.5
	v_mul_f64 v[29:30], v[29:30], 0.5
	;; [unrolled: 1-line block ×3, first 2 shown]
	v_mov_b32_e32 v21, v23
	v_lshlrev_b64 v[20:21], 4, v[20:21]
	v_mov_b32_e32 v22, s5
	s_waitcnt vmcnt(1)
	v_mul_f64 v[9:10], v[11:12], v[7:8]
	v_fma_f64 v[31:32], v[29:30], v[7:8], v[3:4]
	v_fma_f64 v[3:4], v[29:30], v[7:8], -v[3:4]
	v_add_co_u32_e64 v7, s[0:1], s4, v20
	v_addc_co_u32_e64 v8, s[0:1], v22, v21, s[0:1]
	v_fma_f64 v[33:34], v[1:2], 0.5, v[9:10]
	v_fma_f64 v[1:2], v[1:2], 0.5, -v[9:10]
	global_load_dwordx4 v[7:10], v[7:8], off
	v_fma_f64 v[20:21], -v[5:6], v[11:12], v[31:32]
	v_fma_f64 v[3:4], -v[5:6], v[11:12], v[3:4]
	v_fma_f64 v[11:12], v[29:30], v[5:6], v[33:34]
	v_fma_f64 v[1:2], -v[29:30], v[5:6], v[1:2]
	ds_write_b64 v24, v[20:21] offset:8
	ds_write_b64 v13, v[3:4] offset:38920
	ds_write_b64 v24, v[11:12]
	ds_write_b64 v13, v[1:2] offset:38912
	ds_read_b128 v[1:4], v16
	ds_read_b128 v[29:32], v13 offset:36864
	v_mov_b32_e32 v20, v23
	v_lshlrev_b64 v[19:20], 4, v[19:20]
	s_waitcnt lgkmcnt(0)
	v_add_f64 v[5:6], v[1:2], -v[29:30]
	v_add_f64 v[11:12], v[3:4], v[31:32]
	v_add_f64 v[3:4], v[3:4], -v[31:32]
	v_add_f64 v[1:2], v[1:2], v[29:30]
	v_mov_b32_e32 v31, s5
	v_mul_f64 v[21:22], v[5:6], 0.5
	v_mul_f64 v[11:12], v[11:12], 0.5
	;; [unrolled: 1-line block ×3, first 2 shown]
	s_waitcnt vmcnt(1)
	v_mul_f64 v[5:6], v[21:22], v[27:28]
	v_fma_f64 v[23:24], v[11:12], v[27:28], v[3:4]
	v_fma_f64 v[27:28], v[11:12], v[27:28], -v[3:4]
	v_add_co_u32_e64 v3, s[0:1], s4, v19
	v_addc_co_u32_e64 v4, s[0:1], v31, v20, s[0:1]
	v_fma_f64 v[29:30], v[1:2], 0.5, v[5:6]
	v_fma_f64 v[1:2], v[1:2], 0.5, -v[5:6]
	global_load_dwordx4 v[3:6], v[3:4], off
	v_fma_f64 v[19:20], -v[25:26], v[21:22], v[23:24]
	v_fma_f64 v[21:22], -v[25:26], v[21:22], v[27:28]
	v_fma_f64 v[23:24], v[11:12], v[25:26], v[29:30]
	v_fma_f64 v[1:2], -v[11:12], v[25:26], v[1:2]
	v_add_u32_e32 v29, v76, v15
	ds_write_b64 v16, v[19:20] offset:8
	ds_write_b64 v13, v[21:22] offset:36872
	ds_write_b64 v16, v[23:24]
	ds_write_b64 v13, v[1:2] offset:36864
	ds_read_b128 v[19:22], v29
	ds_read_b128 v[23:26], v13 offset:34816
	s_waitcnt lgkmcnt(0)
	v_add_f64 v[1:2], v[19:20], -v[23:24]
	v_add_f64 v[11:12], v[21:22], v[25:26]
	v_add_f64 v[15:16], v[21:22], -v[25:26]
	v_mul_f64 v[21:22], v[1:2], 0.5
	v_mul_f64 v[25:26], v[11:12], 0.5
	v_mul_f64 v[1:2], v[15:16], 0.5
	v_add_f64 v[11:12], v[19:20], v[23:24]
	s_waitcnt vmcnt(1)
	v_mul_f64 v[15:16], v[21:22], v[9:10]
	v_fma_f64 v[19:20], v[25:26], v[9:10], v[1:2]
	v_fma_f64 v[23:24], v[25:26], v[9:10], -v[1:2]
	v_or_b32_e32 v1, 0x280, v0
	v_lshlrev_b32_e32 v1, 4, v1
	v_or_b32_e32 v2, 0x300, v0
	v_lshlrev_b32_e32 v2, 4, v2
	v_fma_f64 v[27:28], v[11:12], 0.5, v[15:16]
	v_fma_f64 v[15:16], v[11:12], 0.5, -v[15:16]
	global_load_dwordx4 v[9:12], v1, s[4:5]
	v_fma_f64 v[19:20], -v[7:8], v[21:22], v[19:20]
	v_fma_f64 v[21:22], -v[7:8], v[21:22], v[23:24]
	v_fma_f64 v[23:24], v[25:26], v[7:8], v[27:28]
	v_fma_f64 v[7:8], -v[25:26], v[7:8], v[15:16]
	v_add_u32_e32 v16, v75, v14
	ds_write_b64 v29, v[19:20] offset:8
	ds_write_b64 v13, v[21:22] offset:34824
	ds_write_b64 v29, v[23:24]
	ds_write_b64 v13, v[7:8] offset:34816
	ds_read_b128 v[19:22], v16
	ds_read_b128 v[23:26], v13 offset:32768
	s_waitcnt lgkmcnt(0)
	v_add_f64 v[7:8], v[19:20], -v[23:24]
	v_add_f64 v[14:15], v[21:22], v[25:26]
	v_add_f64 v[21:22], v[21:22], -v[25:26]
	v_add_f64 v[19:20], v[19:20], v[23:24]
	v_mul_f64 v[25:26], v[7:8], 0.5
	v_mul_f64 v[14:15], v[14:15], 0.5
	;; [unrolled: 1-line block ×3, first 2 shown]
	s_waitcnt vmcnt(1)
	v_mul_f64 v[21:22], v[25:26], v[5:6]
	v_fma_f64 v[23:24], v[14:15], v[5:6], v[7:8]
	v_fma_f64 v[27:28], v[14:15], v[5:6], -v[7:8]
	global_load_dwordx4 v[5:8], v2, s[4:5]
	v_fma_f64 v[29:30], v[19:20], 0.5, v[21:22]
	v_fma_f64 v[19:20], v[19:20], 0.5, -v[21:22]
	v_fma_f64 v[21:22], -v[3:4], v[25:26], v[23:24]
	v_fma_f64 v[23:24], -v[3:4], v[25:26], v[27:28]
	v_fma_f64 v[25:26], v[14:15], v[3:4], v[29:30]
	v_fma_f64 v[3:4], -v[14:15], v[3:4], v[19:20]
	ds_write_b64 v16, v[21:22] offset:8
	ds_write_b64 v13, v[23:24] offset:32776
	ds_write_b64 v16, v[25:26]
	ds_write_b64 v13, v[3:4] offset:32768
	ds_read_b128 v[19:22], v74 offset:10240
	ds_read_b128 v[23:26], v13 offset:30720
	s_waitcnt lgkmcnt(0)
	v_add_f64 v[3:4], v[19:20], -v[23:24]
	v_add_f64 v[14:15], v[21:22], v[25:26]
	v_add_f64 v[21:22], v[21:22], -v[25:26]
	v_add_f64 v[19:20], v[19:20], v[23:24]
	v_mul_f64 v[25:26], v[3:4], 0.5
	v_mul_f64 v[14:15], v[14:15], 0.5
	v_mul_f64 v[3:4], v[21:22], 0.5
	s_waitcnt vmcnt(1)
	v_mul_f64 v[21:22], v[25:26], v[11:12]
	v_fma_f64 v[23:24], v[14:15], v[11:12], v[3:4]
	v_fma_f64 v[11:12], v[14:15], v[11:12], -v[3:4]
	v_or_b32_e32 v3, 0x380, v0
	v_lshlrev_b32_e32 v3, 4, v3
	v_add_u32_e32 v4, 0x2800, v74
	v_fma_f64 v[27:28], v[19:20], 0.5, v[21:22]
	v_fma_f64 v[29:30], v[19:20], 0.5, -v[21:22]
	global_load_dwordx4 v[19:22], v3, s[4:5]
	v_fma_f64 v[23:24], -v[9:10], v[25:26], v[23:24]
	v_fma_f64 v[11:12], -v[9:10], v[25:26], v[11:12]
	v_fma_f64 v[25:26], v[14:15], v[9:10], v[27:28]
	v_fma_f64 v[9:10], -v[14:15], v[9:10], v[29:30]
	ds_write2_b64 v4, v[25:26], v[23:24] offset1:1
	ds_write_b128 v13, v[9:12] offset:30720
	ds_read_b128 v[9:12], v74 offset:12288
	ds_read_b128 v[23:26], v13 offset:28672
	v_or_b32_e32 v4, 0x400, v0
	v_lshlrev_b32_e32 v4, 4, v4
	s_waitcnt lgkmcnt(0)
	v_add_f64 v[14:15], v[9:10], -v[23:24]
	v_add_f64 v[27:28], v[11:12], v[25:26]
	v_add_f64 v[11:12], v[11:12], -v[25:26]
	v_add_f64 v[9:10], v[9:10], v[23:24]
	v_mul_f64 v[14:15], v[14:15], 0.5
	v_mul_f64 v[27:28], v[27:28], 0.5
	;; [unrolled: 1-line block ×3, first 2 shown]
	s_waitcnt vmcnt(1)
	v_mul_f64 v[23:24], v[14:15], v[7:8]
	v_fma_f64 v[25:26], v[27:28], v[7:8], v[11:12]
	v_fma_f64 v[11:12], v[27:28], v[7:8], -v[11:12]
	v_fma_f64 v[29:30], v[9:10], 0.5, v[23:24]
	v_fma_f64 v[23:24], v[9:10], 0.5, -v[23:24]
	global_load_dwordx4 v[7:10], v4, s[4:5]
	v_fma_f64 v[31:32], -v[5:6], v[14:15], v[25:26]
	v_fma_f64 v[25:26], -v[5:6], v[14:15], v[11:12]
	v_fma_f64 v[11:12], v[27:28], v[5:6], v[29:30]
	v_fma_f64 v[23:24], -v[27:28], v[5:6], v[23:24]
	v_add_u32_e32 v6, 0x3000, v74
	v_add_u32_e32 v5, 0, v3
	ds_write2_b64 v6, v[11:12], v[31:32] offset1:1
	ds_write_b128 v13, v[23:26] offset:28672
	ds_read_b128 v[23:26], v5
	ds_read_b128 v[27:30], v13 offset:26624
	v_or_b32_e32 v6, 0x480, v0
	v_lshlrev_b32_e32 v6, 4, v6
	s_waitcnt lgkmcnt(0)
	v_add_f64 v[11:12], v[23:24], -v[27:28]
	v_add_f64 v[14:15], v[25:26], v[29:30]
	v_add_f64 v[25:26], v[25:26], -v[29:30]
	v_add_f64 v[23:24], v[23:24], v[27:28]
	v_mul_f64 v[11:12], v[11:12], 0.5
	v_mul_f64 v[14:15], v[14:15], 0.5
	;; [unrolled: 1-line block ×3, first 2 shown]
	s_waitcnt vmcnt(1)
	v_mul_f64 v[27:28], v[11:12], v[21:22]
	v_fma_f64 v[29:30], v[14:15], v[21:22], v[25:26]
	v_fma_f64 v[25:26], v[14:15], v[21:22], -v[25:26]
	v_fma_f64 v[31:32], v[23:24], 0.5, v[27:28]
	v_fma_f64 v[33:34], v[23:24], 0.5, -v[27:28]
	global_load_dwordx4 v[21:24], v6, s[4:5]
	v_fma_f64 v[29:30], -v[19:20], v[11:12], v[29:30]
	v_fma_f64 v[27:28], -v[19:20], v[11:12], v[25:26]
	v_fma_f64 v[11:12], v[14:15], v[19:20], v[31:32]
	v_fma_f64 v[25:26], -v[14:15], v[19:20], v[33:34]
	ds_write2_b64 v5, v[11:12], v[29:30] offset1:1
	ds_write_b128 v13, v[25:28] offset:26624
	ds_read_b128 v[25:28], v74 offset:16384
	ds_read_b128 v[29:32], v13 offset:24576
	s_waitcnt lgkmcnt(0)
	v_add_f64 v[11:12], v[25:26], -v[29:30]
	v_add_f64 v[14:15], v[27:28], v[31:32]
	v_add_f64 v[19:20], v[27:28], -v[31:32]
	v_add_f64 v[25:26], v[25:26], v[29:30]
	v_mul_f64 v[11:12], v[11:12], 0.5
	v_mul_f64 v[14:15], v[14:15], 0.5
	;; [unrolled: 1-line block ×3, first 2 shown]
	s_waitcnt vmcnt(1)
	v_mul_f64 v[27:28], v[11:12], v[9:10]
	v_fma_f64 v[29:30], v[14:15], v[9:10], v[19:20]
	v_fma_f64 v[9:10], v[14:15], v[9:10], -v[19:20]
	v_fma_f64 v[19:20], v[25:26], 0.5, v[27:28]
	v_fma_f64 v[25:26], v[25:26], 0.5, -v[27:28]
	v_fma_f64 v[27:28], -v[7:8], v[11:12], v[29:30]
	v_fma_f64 v[9:10], -v[7:8], v[11:12], v[9:10]
	v_fma_f64 v[11:12], v[14:15], v[7:8], v[19:20]
	v_fma_f64 v[7:8], -v[14:15], v[7:8], v[25:26]
	v_add_u32_e32 v14, 0x4000, v74
	ds_write2_b64 v14, v[11:12], v[27:28] offset1:1
	ds_write_b128 v13, v[7:10] offset:24576
	ds_read_b128 v[7:10], v74 offset:18432
	ds_read_b128 v[25:28], v13 offset:22528
	s_waitcnt lgkmcnt(0)
	v_add_f64 v[11:12], v[7:8], -v[25:26]
	v_add_f64 v[14:15], v[9:10], v[27:28]
	v_add_f64 v[9:10], v[9:10], -v[27:28]
	v_add_f64 v[7:8], v[7:8], v[25:26]
	v_mul_f64 v[11:12], v[11:12], 0.5
	v_mul_f64 v[14:15], v[14:15], 0.5
	;; [unrolled: 1-line block ×3, first 2 shown]
	s_waitcnt vmcnt(0)
	v_mul_f64 v[19:20], v[11:12], v[23:24]
	v_fma_f64 v[25:26], v[14:15], v[23:24], v[9:10]
	v_fma_f64 v[9:10], v[14:15], v[23:24], -v[9:10]
	v_fma_f64 v[23:24], v[7:8], 0.5, v[19:20]
	v_fma_f64 v[7:8], v[7:8], 0.5, -v[19:20]
	v_fma_f64 v[19:20], -v[21:22], v[11:12], v[25:26]
	v_fma_f64 v[9:10], -v[21:22], v[11:12], v[9:10]
	v_fma_f64 v[11:12], v[14:15], v[21:22], v[23:24]
	v_fma_f64 v[7:8], -v[14:15], v[21:22], v[7:8]
	v_add_u32_e32 v14, 0x4800, v74
	ds_write2_b64 v14, v[11:12], v[19:20] offset1:1
	ds_write_b128 v13, v[7:10] offset:22528
	s_waitcnt lgkmcnt(0)
	s_barrier
	s_and_saveexec_b64 s[0:1], vcc
	s_cbranch_execz .LBB0_20
; %bb.18:
	ds_read_b128 v[9:12], v74
	ds_read_b128 v[13:16], v74 offset:2048
	v_mov_b32_e32 v7, s3
	v_add_co_u32_e32 v8, vcc, s2, v17
	v_addc_co_u32_e32 v7, vcc, v7, v18, vcc
	v_add_co_u32_e32 v17, vcc, v8, v73
	v_addc_co_u32_e32 v18, vcc, 0, v7, vcc
	s_waitcnt lgkmcnt(1)
	global_store_dwordx4 v[17:18], v[9:12], off
	s_waitcnt lgkmcnt(0)
	global_store_dwordx4 v[17:18], v[13:16], off offset:2048
	ds_read_b128 v[9:12], v74 offset:4096
	v_or_b32_e32 v13, 0x1000, v73
	v_add_co_u32_e32 v17, vcc, v8, v13
	ds_read_b128 v[13:16], v74 offset:6144
	v_addc_co_u32_e32 v18, vcc, 0, v7, vcc
	s_waitcnt lgkmcnt(1)
	global_store_dwordx4 v[17:18], v[9:12], off
	s_movk_i32 s0, 0x7f
	v_or_b32_e32 v9, 0x1800, v73
	v_add_co_u32_e32 v9, vcc, v8, v9
	v_addc_co_u32_e32 v10, vcc, 0, v7, vcc
	s_waitcnt lgkmcnt(0)
	global_store_dwordx4 v[9:10], v[13:16], off
	ds_read_b128 v[9:12], v74 offset:8192
	v_or_b32_e32 v13, 0x2000, v73
	v_add_co_u32_e32 v17, vcc, v8, v13
	ds_read_b128 v[13:16], v74 offset:10240
	v_addc_co_u32_e32 v18, vcc, 0, v7, vcc
	s_waitcnt lgkmcnt(1)
	global_store_dwordx4 v[17:18], v[9:12], off
	s_nop 0
	v_add_co_u32_e32 v9, vcc, v8, v1
	v_addc_co_u32_e32 v10, vcc, 0, v7, vcc
	s_waitcnt lgkmcnt(0)
	global_store_dwordx4 v[9:10], v[13:16], off
	ds_read_b128 v[9:12], v74 offset:12288
	ds_read_b128 v[13:16], v74 offset:16384
	v_add_co_u32_e32 v1, vcc, v8, v2
	v_addc_co_u32_e32 v2, vcc, 0, v7, vcc
	s_waitcnt lgkmcnt(1)
	global_store_dwordx4 v[1:2], v[9:12], off
	ds_read_b128 v[9:12], v5
	v_add_co_u32_e32 v1, vcc, v8, v3
	v_mov_b32_e32 v3, 0x7800
	v_lshl_or_b32 v21, v0, 4, v3
	v_addc_co_u32_e32 v2, vcc, 0, v7, vcc
	v_add_u32_e32 v3, 0, v21
	ds_read_b128 v[17:20], v3
	s_waitcnt lgkmcnt(1)
	global_store_dwordx4 v[1:2], v[9:12], off
	v_add_co_u32_e32 v1, vcc, v8, v4
	v_addc_co_u32_e32 v2, vcc, 0, v7, vcc
	global_store_dwordx4 v[1:2], v[13:16], off
	ds_read_b128 v[1:4], v74 offset:18432
	ds_read_b128 v[9:12], v74 offset:20480
	v_add_co_u32_e32 v5, vcc, v8, v6
	v_addc_co_u32_e32 v6, vcc, 0, v7, vcc
	s_waitcnt lgkmcnt(1)
	global_store_dwordx4 v[5:6], v[1:4], off
	v_or_b32_e32 v5, 0x5800, v73
	v_or_b32_e32 v1, 0x5000, v73
	v_add_co_u32_e32 v1, vcc, v8, v1
	v_addc_co_u32_e32 v2, vcc, 0, v7, vcc
	s_waitcnt lgkmcnt(0)
	global_store_dwordx4 v[1:2], v[9:12], off
	ds_read_b128 v[1:4], v74 offset:22528
	ds_read_b128 v[9:12], v74 offset:24576
	v_add_co_u32_e32 v5, vcc, v8, v5
	v_addc_co_u32_e32 v6, vcc, 0, v7, vcc
	s_waitcnt lgkmcnt(1)
	global_store_dwordx4 v[5:6], v[1:4], off
	v_or_b32_e32 v5, 0x6800, v73
	v_or_b32_e32 v1, 0x6000, v73
	v_add_co_u32_e32 v1, vcc, v8, v1
	v_addc_co_u32_e32 v2, vcc, 0, v7, vcc
	s_waitcnt lgkmcnt(0)
	global_store_dwordx4 v[1:2], v[9:12], off
	ds_read_b128 v[1:4], v74 offset:26624
	ds_read_b128 v[9:12], v74 offset:28672
	v_add_co_u32_e32 v5, vcc, v8, v5
	v_addc_co_u32_e32 v6, vcc, 0, v7, vcc
	s_waitcnt lgkmcnt(1)
	global_store_dwordx4 v[5:6], v[1:4], off
	v_or_b32_e32 v5, 0x8000, v73
	v_or_b32_e32 v1, 0x7000, v73
	v_add_co_u32_e32 v1, vcc, v8, v1
	v_addc_co_u32_e32 v2, vcc, 0, v7, vcc
	s_waitcnt lgkmcnt(0)
	global_store_dwordx4 v[1:2], v[9:12], off
	v_add_co_u32_e32 v1, vcc, v8, v21
	v_addc_co_u32_e32 v2, vcc, 0, v7, vcc
	global_store_dwordx4 v[1:2], v[17:20], off
	ds_read_b128 v[1:4], v74 offset:32768
	ds_read_b128 v[9:12], v74 offset:34816
	v_add_co_u32_e32 v5, vcc, v8, v5
	v_addc_co_u32_e32 v6, vcc, 0, v7, vcc
	s_waitcnt lgkmcnt(1)
	global_store_dwordx4 v[5:6], v[1:4], off
	v_or_b32_e32 v5, 0x9000, v73
	v_or_b32_e32 v1, 0x8800, v73
	v_add_co_u32_e32 v1, vcc, v8, v1
	v_addc_co_u32_e32 v2, vcc, 0, v7, vcc
	s_waitcnt lgkmcnt(0)
	global_store_dwordx4 v[1:2], v[9:12], off
	ds_read_b128 v[1:4], v74 offset:36864
	ds_read_b128 v[9:12], v74 offset:38912
	v_add_co_u32_e32 v5, vcc, v8, v5
	v_addc_co_u32_e32 v6, vcc, 0, v7, vcc
	s_waitcnt lgkmcnt(1)
	global_store_dwordx4 v[5:6], v[1:4], off
	s_nop 0
	v_or_b32_e32 v1, 0x9800, v73
	v_add_co_u32_e32 v1, vcc, v8, v1
	v_addc_co_u32_e32 v2, vcc, 0, v7, vcc
	v_cmp_eq_u32_e32 vcc, s0, v0
	s_waitcnt lgkmcnt(0)
	global_store_dwordx4 v[1:2], v[9:12], off
	s_and_b64 exec, exec, vcc
	s_cbranch_execz .LBB0_20
; %bb.19:
	v_mov_b32_e32 v0, 0
	ds_read_b128 v[0:3], v0 offset:40960
	v_add_co_u32_e32 v4, vcc, 0xa000, v8
	v_addc_co_u32_e32 v5, vcc, 0, v7, vcc
	s_waitcnt lgkmcnt(0)
	global_store_dwordx4 v[4:5], v[0:3], off
.LBB0_20:
	s_endpgm
	.section	.rodata,"a",@progbits
	.p2align	6, 0x0
	.amdhsa_kernel fft_rtc_back_len2560_factors_4_4_4_10_4_wgs_128_tpt_128_halfLds_dp_ip_CI_unitstride_sbrr_R2C_dirReg
		.amdhsa_group_segment_fixed_size 0
		.amdhsa_private_segment_fixed_size 0
		.amdhsa_kernarg_size 88
		.amdhsa_user_sgpr_count 6
		.amdhsa_user_sgpr_private_segment_buffer 1
		.amdhsa_user_sgpr_dispatch_ptr 0
		.amdhsa_user_sgpr_queue_ptr 0
		.amdhsa_user_sgpr_kernarg_segment_ptr 1
		.amdhsa_user_sgpr_dispatch_id 0
		.amdhsa_user_sgpr_flat_scratch_init 0
		.amdhsa_user_sgpr_private_segment_size 0
		.amdhsa_uses_dynamic_stack 0
		.amdhsa_system_sgpr_private_segment_wavefront_offset 0
		.amdhsa_system_sgpr_workgroup_id_x 1
		.amdhsa_system_sgpr_workgroup_id_y 0
		.amdhsa_system_sgpr_workgroup_id_z 0
		.amdhsa_system_sgpr_workgroup_info 0
		.amdhsa_system_vgpr_workitem_id 0
		.amdhsa_next_free_vgpr 156
		.amdhsa_next_free_sgpr 22
		.amdhsa_reserve_vcc 1
		.amdhsa_reserve_flat_scratch 0
		.amdhsa_float_round_mode_32 0
		.amdhsa_float_round_mode_16_64 0
		.amdhsa_float_denorm_mode_32 3
		.amdhsa_float_denorm_mode_16_64 3
		.amdhsa_dx10_clamp 1
		.amdhsa_ieee_mode 1
		.amdhsa_fp16_overflow 0
		.amdhsa_exception_fp_ieee_invalid_op 0
		.amdhsa_exception_fp_denorm_src 0
		.amdhsa_exception_fp_ieee_div_zero 0
		.amdhsa_exception_fp_ieee_overflow 0
		.amdhsa_exception_fp_ieee_underflow 0
		.amdhsa_exception_fp_ieee_inexact 0
		.amdhsa_exception_int_div_zero 0
	.end_amdhsa_kernel
	.text
.Lfunc_end0:
	.size	fft_rtc_back_len2560_factors_4_4_4_10_4_wgs_128_tpt_128_halfLds_dp_ip_CI_unitstride_sbrr_R2C_dirReg, .Lfunc_end0-fft_rtc_back_len2560_factors_4_4_4_10_4_wgs_128_tpt_128_halfLds_dp_ip_CI_unitstride_sbrr_R2C_dirReg
                                        ; -- End function
	.section	.AMDGPU.csdata,"",@progbits
; Kernel info:
; codeLenInByte = 14960
; NumSgprs: 26
; NumVgprs: 156
; ScratchSize: 0
; MemoryBound: 0
; FloatMode: 240
; IeeeMode: 1
; LDSByteSize: 0 bytes/workgroup (compile time only)
; SGPRBlocks: 3
; VGPRBlocks: 38
; NumSGPRsForWavesPerEU: 26
; NumVGPRsForWavesPerEU: 156
; Occupancy: 1
; WaveLimiterHint : 1
; COMPUTE_PGM_RSRC2:SCRATCH_EN: 0
; COMPUTE_PGM_RSRC2:USER_SGPR: 6
; COMPUTE_PGM_RSRC2:TRAP_HANDLER: 0
; COMPUTE_PGM_RSRC2:TGID_X_EN: 1
; COMPUTE_PGM_RSRC2:TGID_Y_EN: 0
; COMPUTE_PGM_RSRC2:TGID_Z_EN: 0
; COMPUTE_PGM_RSRC2:TIDIG_COMP_CNT: 0
	.type	__hip_cuid_6bb377b19cc97d9c,@object ; @__hip_cuid_6bb377b19cc97d9c
	.section	.bss,"aw",@nobits
	.globl	__hip_cuid_6bb377b19cc97d9c
__hip_cuid_6bb377b19cc97d9c:
	.byte	0                               ; 0x0
	.size	__hip_cuid_6bb377b19cc97d9c, 1

	.ident	"AMD clang version 19.0.0git (https://github.com/RadeonOpenCompute/llvm-project roc-6.4.0 25133 c7fe45cf4b819c5991fe208aaa96edf142730f1d)"
	.section	".note.GNU-stack","",@progbits
	.addrsig
	.addrsig_sym __hip_cuid_6bb377b19cc97d9c
	.amdgpu_metadata
---
amdhsa.kernels:
  - .args:
      - .actual_access:  read_only
        .address_space:  global
        .offset:         0
        .size:           8
        .value_kind:     global_buffer
      - .offset:         8
        .size:           8
        .value_kind:     by_value
      - .actual_access:  read_only
        .address_space:  global
        .offset:         16
        .size:           8
        .value_kind:     global_buffer
      - .actual_access:  read_only
        .address_space:  global
        .offset:         24
        .size:           8
        .value_kind:     global_buffer
      - .offset:         32
        .size:           8
        .value_kind:     by_value
      - .actual_access:  read_only
        .address_space:  global
        .offset:         40
        .size:           8
        .value_kind:     global_buffer
      - .actual_access:  read_only
        .address_space:  global
        .offset:         48
        .size:           8
        .value_kind:     global_buffer
      - .offset:         56
        .size:           4
        .value_kind:     by_value
      - .actual_access:  read_only
        .address_space:  global
        .offset:         64
        .size:           8
        .value_kind:     global_buffer
      - .actual_access:  read_only
        .address_space:  global
        .offset:         72
        .size:           8
        .value_kind:     global_buffer
      - .address_space:  global
        .offset:         80
        .size:           8
        .value_kind:     global_buffer
    .group_segment_fixed_size: 0
    .kernarg_segment_align: 8
    .kernarg_segment_size: 88
    .language:       OpenCL C
    .language_version:
      - 2
      - 0
    .max_flat_workgroup_size: 128
    .name:           fft_rtc_back_len2560_factors_4_4_4_10_4_wgs_128_tpt_128_halfLds_dp_ip_CI_unitstride_sbrr_R2C_dirReg
    .private_segment_fixed_size: 0
    .sgpr_count:     26
    .sgpr_spill_count: 0
    .symbol:         fft_rtc_back_len2560_factors_4_4_4_10_4_wgs_128_tpt_128_halfLds_dp_ip_CI_unitstride_sbrr_R2C_dirReg.kd
    .uniform_work_group_size: 1
    .uses_dynamic_stack: false
    .vgpr_count:     156
    .vgpr_spill_count: 0
    .wavefront_size: 64
amdhsa.target:   amdgcn-amd-amdhsa--gfx906
amdhsa.version:
  - 1
  - 2
...

	.end_amdgpu_metadata
